;; amdgpu-corpus repo=ROCm/rocBLAS kind=compiled arch=gfx1250 opt=O3
	.amdgcn_target "amdgcn-amd-amdhsa--gfx1250"
	.amdhsa_code_object_version 6
	.section	.text._ZL20rocblas_rotmg_kernelILi32EPfPKfEvT0_llS3_llS3_llT1_llS3_lli,"axG",@progbits,_ZL20rocblas_rotmg_kernelILi32EPfPKfEvT0_llS3_llS3_llT1_llS3_lli,comdat
	.globl	_ZL20rocblas_rotmg_kernelILi32EPfPKfEvT0_llS3_llS3_llT1_llS3_lli ; -- Begin function _ZL20rocblas_rotmg_kernelILi32EPfPKfEvT0_llS3_llS3_llT1_llS3_lli
	.p2align	8
	.type	_ZL20rocblas_rotmg_kernelILi32EPfPKfEvT0_llS3_llS3_llT1_llS3_lli,@function
_ZL20rocblas_rotmg_kernelILi32EPfPKfEvT0_llS3_llS3_llT1_llS3_lli: ; @_ZL20rocblas_rotmg_kernelILi32EPfPKfEvT0_llS3_llS3_llT1_llS3_lli
; %bb.0:
	s_load_b32 s2, s[0:1], 0x78
	s_bfe_u32 s3, ttmp6, 0x4000c
	s_and_b32 s4, ttmp6, 15
	s_add_co_i32 s3, s3, 1
	s_getreg_b32 s5, hwreg(HW_REG_IB_STS2, 6, 4)
	s_mul_i32 s3, ttmp9, s3
	s_delay_alu instid0(SALU_CYCLE_1) | instskip(SKIP_2) | instid1(SALU_CYCLE_1)
	s_add_co_i32 s4, s4, s3
	s_cmp_eq_u32 s5, 0
	s_cselect_b32 s3, ttmp9, s4
	v_lshl_or_b32 v10, s3, 5, v0
	s_wait_kmcnt 0x0
	s_delay_alu instid0(VALU_DEP_1)
	v_cmp_gt_i32_e32 vcc_lo, s2, v10
	s_mov_b32 s2, 0
	s_and_saveexec_b32 s3, vcc_lo
	s_cbranch_execz .LBB0_4
; %bb.1:
	s_load_b512 s[4:19], s[0:1], 0x0
	v_mov_b32_e32 v11, 0
                                        ; implicit-def: $vgpr18
                                        ; implicit-def: $vgpr17
                                        ; implicit-def: $vgpr16
	s_wait_kmcnt 0x0
	s_delay_alu instid0(VALU_DEP_1) | instskip(NEXT) | instid1(VALU_DEP_1)
	v_mul_u64_e32 v[0:1], s[8:9], v[10:11]
	v_lshl_add_u64 v[0:1], v[0:1], 2, s[4:5]
	s_delay_alu instid0(VALU_DEP_1)
	v_lshl_add_u64 v[6:7], s[6:7], 2, v[0:1]
	v_mul_u64_e32 v[0:1], s[14:15], v[10:11]
	global_load_b32 v19, v[6:7], off
	s_clause 0x1
	s_load_b256 s[20:27], s[0:1], 0x40
	s_load_b256 s[36:43], s[0:1], 0x60
	s_wait_xcnt 0x0
	s_mov_b32 s0, exec_lo
	s_wait_kmcnt 0x0
	v_mul_u64_e32 v[2:3], s[20:21], v[10:11]
	v_mul_u64_e32 v[4:5], s[40:41], v[10:11]
	v_lshl_add_u64 v[0:1], v[0:1], 2, s[10:11]
	s_delay_alu instid0(VALU_DEP_3) | instskip(NEXT) | instid1(VALU_DEP_3)
	v_lshl_add_u64 v[8:9], v[2:3], 2, s[16:17]
	v_lshl_add_u64 v[4:5], v[4:5], 2, s[36:37]
	s_delay_alu instid0(VALU_DEP_3) | instskip(NEXT) | instid1(VALU_DEP_3)
	v_lshl_add_u64 v[2:3], s[12:13], 2, v[0:1]
	v_lshl_add_u64 v[8:9], s[18:19], 2, v[8:9]
	s_delay_alu instid0(VALU_DEP_3)
	v_lshl_add_u64 v[0:1], s[38:39], 2, v[4:5]
                                        ; implicit-def: $vgpr5
	s_wait_loadcnt 0x0
	v_cmpx_ngt_f32_e32 0, v19
	s_xor_b32 s4, exec_lo, s0
	s_cbranch_execnz .LBB0_5
; %bb.2:
	s_and_not1_saveexec_b32 s0, s4
	s_cbranch_execnz .LBB0_35
.LBB0_3:
	s_or_b32 exec_lo, exec_lo, s0
	s_delay_alu instid0(SALU_CYCLE_1)
	s_and_b32 exec_lo, exec_lo, s2
	s_cbranch_execnz .LBB0_36
.LBB0_4:
	s_endpgm
.LBB0_5:
	v_mul_u64_e32 v[4:5], s[26:27], v[10:11]
	s_mov_b32 s1, exec_lo
	s_delay_alu instid0(VALU_DEP_1) | instskip(NEXT) | instid1(VALU_DEP_1)
	v_lshl_add_u64 v[4:5], v[4:5], 2, s[22:23]
	v_lshl_add_u64 v[14:15], s[24:25], 2, v[4:5]
	global_load_b32 v20, v[2:3], off
	global_load_b32 v11, v[14:15], off
	s_wait_loadcnt 0x0
	v_mul_f32_e32 v13, v20, v11
	s_delay_alu instid0(VALU_DEP_1)
	v_cmp_neq_f32_e64 s0, 0, v13
	v_cmpx_eq_f32_e32 0, v13
	s_xor_b32 s1, exec_lo, s1
	s_cbranch_execz .LBB0_7
; %bb.6:
	v_mov_b32_e32 v2, -2.0
                                        ; implicit-def: $vgpr6_vgpr7
                                        ; implicit-def: $vgpr8_vgpr9
                                        ; implicit-def: $vgpr19
                                        ; implicit-def: $vgpr11
                                        ; implicit-def: $vgpr13
                                        ; implicit-def: $vgpr20
                                        ; implicit-def: $vgpr14_vgpr15
	global_store_b32 v[0:1], v2, off
                                        ; implicit-def: $vgpr2_vgpr3
.LBB0_7:
	s_wait_xcnt 0x0
	s_or_saveexec_b32 s5, s1
	v_dual_mov_b32 v18, -2.0 :: v_dual_mov_b32 v5, 0
	v_dual_mov_b32 v4, 0 :: v_dual_mov_b32 v17, 0
	v_mov_b32_e32 v16, 0
	s_xor_b32 exec_lo, exec_lo, s5
	s_cbranch_execz .LBB0_34
; %bb.8:
	global_load_b32 v10, v[8:9], off
                                        ; implicit-def: $vgpr18
                                        ; implicit-def: $vgpr16
	s_wait_loadcnt 0x0
	v_mul_f32_e32 v12, v19, v10
	s_delay_alu instid0(VALU_DEP_1) | instskip(NEXT) | instid1(VALU_DEP_1)
	v_pk_mul_f32 v[4:5], v[10:11], v[12:13]
	v_cmp_ngt_f32_e64 s1, |v4|, |v5|
                                        ; implicit-def: $vgpr4
	s_wait_xcnt 0x0
	s_and_saveexec_b32 s2, s1
	s_delay_alu instid0(SALU_CYCLE_1)
	s_xor_b32 s2, exec_lo, s2
	s_cbranch_execz .LBB0_14
; %bb.9:
                                        ; implicit-def: $vgpr4
                                        ; implicit-def: $vgpr16
	s_mov_b32 s1, exec_lo
	v_cmpx_ngt_f32_e32 0, v5
	s_xor_b32 s3, exec_lo, s1
	s_cbranch_execz .LBB0_11
; %bb.10:
	v_div_scale_f32 v4, null, v13, v13, v12
	v_div_scale_f32 v5, null, v11, v11, v10
	v_div_scale_f32 v22, vcc_lo, v12, v13, v12
	s_delay_alu instid0(VALU_DEP_3) | instskip(NEXT) | instid1(VALU_DEP_2)
	v_rcp_f32_e32 v16, v4
	v_rcp_f32_e32 v17, v5
	s_delay_alu instid0(TRANS32_DEP_2) | instskip(NEXT) | instid1(TRANS32_DEP_1)
	v_fma_f32 v18, -v4, v16, 1.0
	v_fma_f32 v21, -v5, v17, 1.0
	s_delay_alu instid0(VALU_DEP_1) | instskip(SKIP_1) | instid1(VALU_DEP_1)
	v_dual_fmac_f32 v16, v18, v16 :: v_dual_fmac_f32 v17, v21, v17
	v_div_scale_f32 v18, s1, v10, v11, v10
	v_mul_f32_e32 v23, v18, v17
	s_delay_alu instid0(VALU_DEP_1) | instskip(NEXT) | instid1(VALU_DEP_1)
	v_dual_mul_f32 v21, v22, v16 :: v_dual_fma_f32 v25, -v5, v23, v18
	v_fma_f32 v24, -v4, v21, v22
	s_delay_alu instid0(VALU_DEP_1) | instskip(NEXT) | instid1(VALU_DEP_1)
	v_dual_fmac_f32 v21, v24, v16 :: v_dual_fmac_f32 v23, v25, v17
	v_fma_f32 v4, -v4, v21, v22
	s_delay_alu instid0(VALU_DEP_2) | instskip(NEXT) | instid1(VALU_DEP_2)
	v_fma_f32 v5, -v5, v23, v18
	v_div_fmas_f32 v4, v4, v16, v21
	s_mov_b32 vcc_lo, s1
	s_delay_alu instid0(VALU_DEP_2) | instskip(NEXT) | instid1(VALU_DEP_2)
	v_div_fmas_f32 v5, v5, v17, v23
	v_div_fixup_f32 v4, v4, v13, v12
	s_delay_alu instid0(VALU_DEP_2) | instskip(NEXT) | instid1(VALU_DEP_1)
	v_div_fixup_f32 v16, v5, v11, v10
	v_fma_f32 v5, v16, v4, 1.0
	s_delay_alu instid0(VALU_DEP_1) | instskip(SKIP_2) | instid1(VALU_DEP_3)
	v_div_scale_f32 v10, null, v5, v5, v20
	v_div_scale_f32 v11, null, v5, v5, v19
	v_div_scale_f32 v21, vcc_lo, v20, v5, v20
	v_rcp_f32_e32 v12, v10
	s_delay_alu instid0(VALU_DEP_2) | instskip(NEXT) | instid1(TRANS32_DEP_2)
	v_rcp_f32_e32 v13, v11
	v_fma_f32 v17, -v10, v12, 1.0
	s_delay_alu instid0(TRANS32_DEP_1) | instskip(NEXT) | instid1(VALU_DEP_1)
	v_fma_f32 v18, -v11, v13, 1.0
	v_dual_fmac_f32 v13, v18, v13 :: v_dual_fmac_f32 v12, v17, v12
	v_div_scale_f32 v17, s1, v19, v5, v19
	s_delay_alu instid0(VALU_DEP_1) | instskip(NEXT) | instid1(VALU_DEP_1)
	v_mul_f32_e32 v22, v17, v13
	v_dual_fma_f32 v24, -v11, v22, v17 :: v_dual_mul_f32 v18, v21, v12
	s_delay_alu instid0(VALU_DEP_1) | instskip(NEXT) | instid1(VALU_DEP_1)
	v_dual_fmac_f32 v22, v24, v13 :: v_dual_fma_f32 v23, -v10, v18, v21
	v_fma_f32 v11, -v11, v22, v17
	s_delay_alu instid0(VALU_DEP_2) | instskip(NEXT) | instid1(VALU_DEP_1)
	v_fmac_f32_e32 v18, v23, v12
	v_fma_f32 v10, -v10, v18, v21
	s_delay_alu instid0(VALU_DEP_1) | instskip(SKIP_2) | instid1(VALU_DEP_2)
	v_div_fmas_f32 v10, v10, v12, v18
	s_mov_b32 vcc_lo, s1
	v_div_fmas_f32 v11, v11, v13, v22
	v_div_fixup_f32 v10, v10, v5, v20
	s_delay_alu instid0(VALU_DEP_2)
	v_div_fixup_f32 v11, v11, v5, v19
	global_store_b32 v[2:3], v11, off
	global_store_b32 v[6:7], v10, off
	global_load_b32 v10, v[14:15], off
	s_wait_loadcnt 0x0
	v_mul_f32_e32 v5, v5, v10
	global_store_b32 v[8:9], v5, off
.LBB0_11:
	s_wait_xcnt 0x0
	s_or_saveexec_b32 s1, s3
	v_mov_b32_e32 v18, 1.0
	s_xor_b32 exec_lo, exec_lo, s1
	s_cbranch_execz .LBB0_13
; %bb.12:
	v_dual_mov_b32 v4, 0 :: v_dual_mov_b32 v18, -1.0
	v_mov_b32_e32 v16, 0
	global_store_b32 v[8:9], v4, off
	global_store_b32 v[2:3], v4, off
	;; [unrolled: 1-line block ×3, first 2 shown]
.LBB0_13:
	s_wait_xcnt 0x0
	s_or_b32 exec_lo, exec_lo, s1
                                        ; implicit-def: $vgpr10
                                        ; implicit-def: $vgpr12
                                        ; implicit-def: $vgpr19
.LBB0_14:
	s_or_saveexec_b32 s2, s2
	v_dual_mov_b32 v17, 0 :: v_dual_mov_b32 v5, 0
	s_xor_b32 exec_lo, exec_lo, s2
	s_cbranch_execz .LBB0_18
; %bb.15:
	v_div_scale_f32 v4, null, v10, v10, -v11
	v_div_scale_f32 v5, null, v12, v12, v13
	v_div_scale_f32 v18, vcc_lo, -v11, v10, -v11
	s_delay_alu instid0(VALU_DEP_3) | instskip(NEXT) | instid1(VALU_DEP_2)
	v_rcp_f32_e32 v14, v4
	v_rcp_f32_e32 v15, v5
	s_delay_alu instid0(TRANS32_DEP_2) | instskip(NEXT) | instid1(TRANS32_DEP_1)
	v_fma_f32 v16, -v4, v14, 1.0
	v_fma_f32 v17, -v5, v15, 1.0
	s_delay_alu instid0(VALU_DEP_1) | instskip(SKIP_1) | instid1(VALU_DEP_1)
	v_dual_fmac_f32 v14, v16, v14 :: v_dual_fmac_f32 v15, v17, v15
	v_div_scale_f32 v16, s1, v13, v12, v13
	v_dual_mul_f32 v17, v18, v14 :: v_dual_mul_f32 v20, v16, v15
	s_delay_alu instid0(VALU_DEP_1) | instskip(NEXT) | instid1(VALU_DEP_1)
	v_dual_fma_f32 v21, -v4, v17, v18 :: v_dual_fma_f32 v22, -v5, v20, v16
	v_dual_fmac_f32 v17, v21, v14 :: v_dual_fmac_f32 v20, v22, v15
	s_delay_alu instid0(VALU_DEP_1) | instskip(NEXT) | instid1(VALU_DEP_2)
	v_dual_fma_f32 v4, -v4, v17, v18 :: v_dual_mov_b32 v18, -1.0
	v_fma_f32 v5, -v5, v20, v16
	s_delay_alu instid0(VALU_DEP_2) | instskip(SKIP_2) | instid1(VALU_DEP_2)
	v_div_fmas_f32 v4, v4, v14, v17
	s_mov_b32 vcc_lo, s1
	s_mov_b32 s1, exec_lo
	v_div_fmas_f32 v14, v5, v15, v20
	s_delay_alu instid0(VALU_DEP_2) | instskip(NEXT) | instid1(VALU_DEP_2)
	v_div_fixup_f32 v5, v4, v10, -v11
	v_div_fixup_f32 v17, v14, v12, v13
	s_delay_alu instid0(VALU_DEP_1) | instskip(NEXT) | instid1(VALU_DEP_1)
	v_fma_f32 v4, -v5, v17, 1.0
	v_cmpx_lt_f32_e32 0, v4
	s_cbranch_execz .LBB0_17
; %bb.16:
	v_div_scale_f32 v10, null, v4, v4, v19
	v_div_scale_f32 v13, vcc_lo, v19, v4, v19
	v_mov_b32_e32 v18, 0
	s_delay_alu instid0(VALU_DEP_3) | instskip(SKIP_1) | instid1(TRANS32_DEP_1)
	v_rcp_f32_e32 v11, v10
	v_nop
	v_fma_f32 v12, -v10, v11, 1.0
	s_delay_alu instid0(VALU_DEP_1) | instskip(NEXT) | instid1(VALU_DEP_1)
	v_fmac_f32_e32 v11, v12, v11
	v_mul_f32_e32 v12, v13, v11
	s_delay_alu instid0(VALU_DEP_1) | instskip(NEXT) | instid1(VALU_DEP_1)
	v_fma_f32 v14, -v10, v12, v13
	v_fmac_f32_e32 v12, v14, v11
	s_delay_alu instid0(VALU_DEP_1) | instskip(NEXT) | instid1(VALU_DEP_1)
	v_fma_f32 v10, -v10, v12, v13
	v_div_fmas_f32 v10, v10, v11, v12
	s_delay_alu instid0(VALU_DEP_1) | instskip(SKIP_4) | instid1(VALU_DEP_1)
	v_div_fixup_f32 v10, v10, v4, v19
	global_store_b32 v[6:7], v10, off
	global_load_b32 v10, v[2:3], off
	s_wait_loadcnt 0x0
	v_div_scale_f32 v11, null, v4, v4, v10
	v_rcp_f32_e32 v12, v11
	v_nop
	s_delay_alu instid0(TRANS32_DEP_1) | instskip(NEXT) | instid1(VALU_DEP_1)
	v_fma_f32 v13, -v11, v12, 1.0
	v_fmac_f32_e32 v12, v13, v12
	v_div_scale_f32 v13, vcc_lo, v10, v4, v10
	s_delay_alu instid0(VALU_DEP_1) | instskip(NEXT) | instid1(VALU_DEP_1)
	v_mul_f32_e32 v14, v13, v12
	v_fma_f32 v15, -v11, v14, v13
	s_delay_alu instid0(VALU_DEP_1) | instskip(NEXT) | instid1(VALU_DEP_1)
	v_fmac_f32_e32 v14, v15, v12
	v_fma_f32 v11, -v11, v14, v13
	s_delay_alu instid0(VALU_DEP_1) | instskip(NEXT) | instid1(VALU_DEP_1)
	v_div_fmas_f32 v11, v11, v12, v14
	v_div_fixup_f32 v10, v11, v4, v10
	global_store_b32 v[2:3], v10, off
	global_load_b32 v10, v[8:9], off
	s_wait_loadcnt 0x0
	v_mul_f32_e32 v4, v4, v10
	global_store_b32 v[8:9], v4, off
.LBB0_17:
	s_wait_xcnt 0x0
	s_or_b32 exec_lo, exec_lo, s1
	v_dual_mov_b32 v16, 0 :: v_dual_mov_b32 v4, 0
.LBB0_18:
	s_or_b32 exec_lo, exec_lo, s2
	global_load_b32 v10, v[6:7], off
	s_mov_b32 s3, exec_lo
	s_wait_loadcnt 0x0
	v_cmpx_neq_f32_e32 0, v10
	s_cbranch_execz .LBB0_25
; %bb.19:
	v_cmp_ge_f32_e64 s1, 0x33800000, v10
	v_cmp_le_f32_e64 s2, 0x4b800000, v10
	v_cmp_nge_f32_e32 vcc_lo, 0x33800000, v10
	s_or_b32 s1, s1, s2
	s_delay_alu instid0(SALU_CYCLE_1)
	s_and_saveexec_b32 s6, s1
	s_cbranch_execz .LBB0_24
; %bb.20:
	v_cndmask_b32_e64 v11, 24, 0xffffffe8, vcc_lo
	s_mov_b32 s7, 0
	s_delay_alu instid0(VALU_DEP_1) | instskip(SKIP_4) | instid1(VALU_DEP_1)
	v_ldexp_f32 v10, v10, v11
	global_store_b32 v[6:7], v10, off
	global_load_b32 v11, v[8:9], off
	s_wait_xcnt 0x1
	v_mov_b32_e32 v10, 0x45800000
	v_cndmask_b32_e32 v12, 0x39800000, v10, vcc_lo
	v_cmp_eq_f32_e32 vcc_lo, 0, v18
	v_cndmask_b32_e64 v4, v4, 1.0, vcc_lo
	s_delay_alu instid0(VALU_DEP_1) | instskip(NEXT) | instid1(VALU_DEP_1)
	v_dual_cndmask_b32 v13, 1.0, v17 :: v_dual_mul_f32 v4, v4, v12
	v_dual_cndmask_b32 v5, -1.0, v5, vcc_lo :: v_dual_mul_f32 v17, v13, v12
	s_wait_loadcnt 0x0
	v_mul_f32_e32 v11, v12, v11
	global_store_b32 v[8:9], v11, off
	global_load_b32 v11, v[6:7], off
	s_wait_loadcnt 0x0
	v_cmp_ge_f32_e64 s1, 0x33800000, v11
	v_cmp_le_f32_e64 s2, 0x4b800000, v11
	v_cmp_nge_f32_e64 s8, 0x33800000, v11
	s_or_b32 s1, s1, s2
	s_wait_xcnt 0x0
	s_and_saveexec_b32 s2, s1
	s_cbranch_execz .LBB0_23
.LBB0_21:                               ; =>This Inner Loop Header: Depth=1
	v_cndmask_b32_e64 v5, 24, 0xffffffe8, s8
	v_cndmask_b32_e64 v17, 0x39800000, v10, s8
	s_delay_alu instid0(VALU_DEP_2) | instskip(NEXT) | instid1(VALU_DEP_2)
	v_ldexp_f32 v5, v11, v5
	v_mul_f32_e32 v4, v17, v4
	global_store_b32 v[6:7], v5, off
	global_load_b32 v5, v[8:9], off
	s_wait_loadcnt 0x0
	v_mul_f32_e32 v5, v17, v5
	global_store_b32 v[8:9], v5, off
	global_load_b32 v11, v[6:7], off
	s_wait_loadcnt 0x0
	v_cmp_nge_f32_e64 s8, 0x33800000, v11
	v_cmp_nle_f32_e64 s1, 0x4b800000, v11
	s_and_b32 s1, s8, s1
	s_delay_alu instid0(SALU_CYCLE_1) | instskip(NEXT) | instid1(SALU_CYCLE_1)
	s_and_b32 s1, exec_lo, s1
	s_or_b32 s7, s1, s7
	s_wait_xcnt 0x0
	s_and_not1_b32 exec_lo, exec_lo, s7
	s_cbranch_execnz .LBB0_21
; %bb.22:
	s_or_b32 exec_lo, exec_lo, s7
	v_mov_b32_e32 v5, -1.0
.LBB0_23:
	s_or_b32 exec_lo, exec_lo, s2
	v_cndmask_b32_e64 v16, v16, 1.0, vcc_lo
	v_mov_b32_e32 v18, -1.0
.LBB0_24:
	s_or_b32 exec_lo, exec_lo, s6
.LBB0_25:
	s_delay_alu instid0(SALU_CYCLE_1)
	s_or_b32 exec_lo, exec_lo, s3
	global_load_b32 v6, v[2:3], off
	s_mov_b32 s6, exec_lo
	s_wait_loadcnt 0x0
	v_cmpx_neq_f32_e32 0, v6
	s_cbranch_execz .LBB0_33
; %bb.26:
	v_cmp_gt_f32_e32 vcc_lo, 0, v6
	v_cndmask_b32_e64 v7, v6, -v6, vcc_lo
	s_delay_alu instid0(VALU_DEP_1) | instskip(SKIP_3) | instid1(SALU_CYCLE_1)
	v_cmp_ge_f32_e32 vcc_lo, 0x33800000, v7
	v_cmp_le_f32_e64 s2, 0x4b800000, v7
	v_cmp_nge_f32_e64 s1, 0x33800000, v7
	s_or_b32 s2, vcc_lo, s2
	s_and_saveexec_b32 s7, s2
	s_cbranch_execz .LBB0_32
; %bb.27:
	v_cndmask_b32_e64 v7, 24, 0xffffffe8, s1
	v_cmp_eq_f32_e32 vcc_lo, 0, v18
	v_mov_b32_e32 v8, 0x45800000
	s_delay_alu instid0(VALU_DEP_3) | instskip(SKIP_1) | instid1(VALU_DEP_3)
	v_ldexp_f32 v6, v6, v7
	v_cndmask_b32_e32 v5, -1.0, v5, vcc_lo
	v_cndmask_b32_e64 v8, 0x39800000, v8, s1
	v_cndmask_b32_e64 v7, v16, 1.0, vcc_lo
	v_cndmask_b32_e32 v17, 1.0, v17, vcc_lo
	v_cmp_gt_f32_e64 s1, 0, v6
	global_store_b32 v[2:3], v6, off
	v_dual_mul_f32 v5, v5, v8 :: v_dual_mul_f32 v16, v7, v8
	v_cndmask_b32_e64 v9, v6, -v6, s1
	s_delay_alu instid0(VALU_DEP_1)
	v_cmp_ge_f32_e64 s2, 0x33800000, v9
	v_cmp_le_f32_e64 s3, 0x4b800000, v9
	v_cmp_nge_f32_e64 s1, 0x33800000, v9
	s_or_b32 s2, s2, s3
	s_wait_xcnt 0x0
	s_and_saveexec_b32 s3, s2
	s_cbranch_execz .LBB0_31
; %bb.28:
	v_mov_b32_e32 v5, 0x33800000
	s_mov_b32 s8, 0
	s_and_b32 s10, s1, exec_lo
                                        ; implicit-def: $sgpr9
.LBB0_29:                               ; =>This Inner Loop Header: Depth=1
	s_delay_alu instid0(VALU_DEP_1) | instid1(SALU_CYCLE_1)
	v_cndmask_b32_e64 v7, 0x4b800000, v5, s10
	s_delay_alu instid0(VALU_DEP_1) | instskip(NEXT) | instid1(VALU_DEP_1)
	v_mul_f32_e32 v6, v7, v6
	v_cmp_gt_f32_e64 s1, 0, v6
	s_delay_alu instid0(VALU_DEP_1) | instskip(NEXT) | instid1(VALU_DEP_1)
	v_cndmask_b32_e64 v7, v6, -v6, s1
	v_cmp_nge_f32_e64 s1, 0x33800000, v7
	v_cmp_nle_f32_e64 s2, 0x4b800000, v7
	v_cndmask_b32_e64 v7, -12, 12, s10
	s_and_b32 s2, s1, s2
	s_delay_alu instid0(VALU_DEP_1) | instskip(SKIP_1) | instid1(SALU_CYCLE_1)
	v_ldexp_f32 v16, v16, v7
	s_and_b32 s2, exec_lo, s2
	s_or_b32 s8, s2, s8
	s_and_not1_b32 s2, s10, exec_lo
	s_and_b32 s1, s1, exec_lo
	s_and_not1_b32 s9, s9, exec_lo
	s_and_b32 s10, s10, exec_lo
	s_or_b32 s1, s2, s1
	s_or_b32 s9, s9, s10
	s_mov_b32 s10, s1
	s_and_not1_b32 exec_lo, exec_lo, s8
	s_cbranch_execnz .LBB0_29
; %bb.30:
	s_or_b32 exec_lo, exec_lo, s8
	v_mov_b32_e32 v5, 0xc5800000
	v_mov_b32_e32 v17, 1.0
	global_store_b32 v[2:3], v6, off
	v_cndmask_b32_e64 v5, 0xb9800000, v5, s9
.LBB0_31:
	s_wait_xcnt 0x0
	s_or_b32 exec_lo, exec_lo, s3
	v_cndmask_b32_e64 v4, v4, 1.0, vcc_lo
	v_mov_b32_e32 v18, -1.0
.LBB0_32:
	s_or_b32 exec_lo, exec_lo, s7
.LBB0_33:
	s_delay_alu instid0(SALU_CYCLE_1)
	s_or_b32 exec_lo, exec_lo, s6
.LBB0_34:
	s_delay_alu instid0(SALU_CYCLE_1) | instskip(NEXT) | instid1(SALU_CYCLE_1)
	s_or_b32 exec_lo, exec_lo, s5
	s_and_b32 s2, s0, exec_lo
                                        ; implicit-def: $vgpr8_vgpr9
                                        ; implicit-def: $vgpr2_vgpr3
                                        ; implicit-def: $vgpr6_vgpr7
	s_and_not1_saveexec_b32 s0, s4
	s_cbranch_execz .LBB0_3
.LBB0_35:
	v_dual_mov_b32 v5, 0 :: v_dual_mov_b32 v18, -1.0
	v_dual_mov_b32 v4, 0 :: v_dual_mov_b32 v17, 0
	v_mov_b32_e32 v16, 0
	s_or_b32 s2, s2, exec_lo
	global_store_b32 v[8:9], v5, off
	global_store_b32 v[2:3], v5, off
	;; [unrolled: 1-line block ×3, first 2 shown]
	s_wait_xcnt 0x0
	s_or_b32 exec_lo, exec_lo, s0
	s_delay_alu instid0(SALU_CYCLE_1)
	s_and_b32 exec_lo, exec_lo, s2
	s_cbranch_execz .LBB0_4
.LBB0_36:
	s_mov_b32 s0, exec_lo
                                        ; implicit-def: $vgpr6_vgpr7
                                        ; implicit-def: $vgpr8
                                        ; implicit-def: $vgpr2_vgpr3
	v_cmpx_ngt_f32_e32 0, v18
	s_xor_b32 s0, exec_lo, s0
; %bb.37:
	v_cmp_eq_f32_e32 vcc_lo, 0, v18
	v_dual_mov_b32 v3, 0 :: v_dual_cndmask_b32 v8, v4, v5
	v_cndmask_b32_e64 v2, 4, 8, vcc_lo
	v_cndmask_b32_e64 v6, 16, 12, vcc_lo
	s_delay_alu instid0(VALU_DEP_3)
	v_dual_mov_b32 v7, v3 :: v_dual_cndmask_b32 v16, v16, v17
                                        ; implicit-def: $vgpr4
                                        ; implicit-def: $vgpr17
; %bb.38:
	s_and_not1_saveexec_b32 s0, s0
	s_cbranch_execz .LBB0_40
; %bb.39:
	v_mov_b64_e32 v[6:7], 16
	v_mov_b64_e32 v[2:3], 12
	v_mov_b32_e32 v8, v17
	global_store_b64 v[0:1], v[4:5], off offset:4
.LBB0_40:
	s_wait_xcnt 0x0
	s_or_b32 exec_lo, exec_lo, s0
	v_add_nc_u64_e32 v[2:3], v[0:1], v[2:3]
	v_add_nc_u64_e32 v[4:5], v[0:1], v[6:7]
	s_clause 0x2
	global_store_b32 v[2:3], v8, off
	global_store_b32 v[4:5], v16, off
	;; [unrolled: 1-line block ×3, first 2 shown]
	s_endpgm
	.section	.rodata,"a",@progbits
	.p2align	6, 0x0
	.amdhsa_kernel _ZL20rocblas_rotmg_kernelILi32EPfPKfEvT0_llS3_llS3_llT1_llS3_lli
		.amdhsa_group_segment_fixed_size 0
		.amdhsa_private_segment_fixed_size 0
		.amdhsa_kernarg_size 124
		.amdhsa_user_sgpr_count 2
		.amdhsa_user_sgpr_dispatch_ptr 0
		.amdhsa_user_sgpr_queue_ptr 0
		.amdhsa_user_sgpr_kernarg_segment_ptr 1
		.amdhsa_user_sgpr_dispatch_id 0
		.amdhsa_user_sgpr_kernarg_preload_length 0
		.amdhsa_user_sgpr_kernarg_preload_offset 0
		.amdhsa_user_sgpr_private_segment_size 0
		.amdhsa_wavefront_size32 1
		.amdhsa_uses_dynamic_stack 0
		.amdhsa_enable_private_segment 0
		.amdhsa_system_sgpr_workgroup_id_x 1
		.amdhsa_system_sgpr_workgroup_id_y 0
		.amdhsa_system_sgpr_workgroup_id_z 0
		.amdhsa_system_sgpr_workgroup_info 0
		.amdhsa_system_vgpr_workitem_id 0
		.amdhsa_next_free_vgpr 26
		.amdhsa_next_free_sgpr 44
		.amdhsa_named_barrier_count 0
		.amdhsa_reserve_vcc 1
		.amdhsa_float_round_mode_32 0
		.amdhsa_float_round_mode_16_64 0
		.amdhsa_float_denorm_mode_32 3
		.amdhsa_float_denorm_mode_16_64 3
		.amdhsa_fp16_overflow 0
		.amdhsa_memory_ordered 1
		.amdhsa_forward_progress 1
		.amdhsa_inst_pref_size 21
		.amdhsa_round_robin_scheduling 0
		.amdhsa_exception_fp_ieee_invalid_op 0
		.amdhsa_exception_fp_denorm_src 0
		.amdhsa_exception_fp_ieee_div_zero 0
		.amdhsa_exception_fp_ieee_overflow 0
		.amdhsa_exception_fp_ieee_underflow 0
		.amdhsa_exception_fp_ieee_inexact 0
		.amdhsa_exception_int_div_zero 0
	.end_amdhsa_kernel
	.section	.text._ZL20rocblas_rotmg_kernelILi32EPfPKfEvT0_llS3_llS3_llT1_llS3_lli,"axG",@progbits,_ZL20rocblas_rotmg_kernelILi32EPfPKfEvT0_llS3_llS3_llT1_llS3_lli,comdat
.Lfunc_end0:
	.size	_ZL20rocblas_rotmg_kernelILi32EPfPKfEvT0_llS3_llS3_llT1_llS3_lli, .Lfunc_end0-_ZL20rocblas_rotmg_kernelILi32EPfPKfEvT0_llS3_llS3_llT1_llS3_lli
                                        ; -- End function
	.set _ZL20rocblas_rotmg_kernelILi32EPfPKfEvT0_llS3_llS3_llT1_llS3_lli.num_vgpr, 26
	.set _ZL20rocblas_rotmg_kernelILi32EPfPKfEvT0_llS3_llS3_llT1_llS3_lli.num_agpr, 0
	.set _ZL20rocblas_rotmg_kernelILi32EPfPKfEvT0_llS3_llS3_llT1_llS3_lli.numbered_sgpr, 44
	.set _ZL20rocblas_rotmg_kernelILi32EPfPKfEvT0_llS3_llS3_llT1_llS3_lli.num_named_barrier, 0
	.set _ZL20rocblas_rotmg_kernelILi32EPfPKfEvT0_llS3_llS3_llT1_llS3_lli.private_seg_size, 0
	.set _ZL20rocblas_rotmg_kernelILi32EPfPKfEvT0_llS3_llS3_llT1_llS3_lli.uses_vcc, 1
	.set _ZL20rocblas_rotmg_kernelILi32EPfPKfEvT0_llS3_llS3_llT1_llS3_lli.uses_flat_scratch, 0
	.set _ZL20rocblas_rotmg_kernelILi32EPfPKfEvT0_llS3_llS3_llT1_llS3_lli.has_dyn_sized_stack, 0
	.set _ZL20rocblas_rotmg_kernelILi32EPfPKfEvT0_llS3_llS3_llT1_llS3_lli.has_recursion, 0
	.set _ZL20rocblas_rotmg_kernelILi32EPfPKfEvT0_llS3_llS3_llT1_llS3_lli.has_indirect_call, 0
	.section	.AMDGPU.csdata,"",@progbits
; Kernel info:
; codeLenInByte = 2688
; TotalNumSgprs: 46
; NumVgprs: 26
; ScratchSize: 0
; MemoryBound: 0
; FloatMode: 240
; IeeeMode: 1
; LDSByteSize: 0 bytes/workgroup (compile time only)
; SGPRBlocks: 0
; VGPRBlocks: 1
; NumSGPRsForWavesPerEU: 46
; NumVGPRsForWavesPerEU: 26
; NamedBarCnt: 0
; Occupancy: 16
; WaveLimiterHint : 0
; COMPUTE_PGM_RSRC2:SCRATCH_EN: 0
; COMPUTE_PGM_RSRC2:USER_SGPR: 2
; COMPUTE_PGM_RSRC2:TRAP_HANDLER: 0
; COMPUTE_PGM_RSRC2:TGID_X_EN: 1
; COMPUTE_PGM_RSRC2:TGID_Y_EN: 0
; COMPUTE_PGM_RSRC2:TGID_Z_EN: 0
; COMPUTE_PGM_RSRC2:TIDIG_COMP_CNT: 0
	.section	.text._ZL20rocblas_rotmg_kernelILi32EPdPKdEvT0_llS3_llS3_llT1_llS3_lli,"axG",@progbits,_ZL20rocblas_rotmg_kernelILi32EPdPKdEvT0_llS3_llS3_llT1_llS3_lli,comdat
	.globl	_ZL20rocblas_rotmg_kernelILi32EPdPKdEvT0_llS3_llS3_llT1_llS3_lli ; -- Begin function _ZL20rocblas_rotmg_kernelILi32EPdPKdEvT0_llS3_llS3_llT1_llS3_lli
	.p2align	8
	.type	_ZL20rocblas_rotmg_kernelILi32EPdPKdEvT0_llS3_llS3_llT1_llS3_lli,@function
_ZL20rocblas_rotmg_kernelILi32EPdPKdEvT0_llS3_llS3_llT1_llS3_lli: ; @_ZL20rocblas_rotmg_kernelILi32EPdPKdEvT0_llS3_llS3_llT1_llS3_lli
; %bb.0:
	s_load_b32 s2, s[0:1], 0x78
	s_bfe_u32 s3, ttmp6, 0x4000c
	s_and_b32 s4, ttmp6, 15
	s_add_co_i32 s3, s3, 1
	s_getreg_b32 s5, hwreg(HW_REG_IB_STS2, 6, 4)
	s_mul_i32 s3, ttmp9, s3
	s_delay_alu instid0(SALU_CYCLE_1) | instskip(SKIP_2) | instid1(SALU_CYCLE_1)
	s_add_co_i32 s4, s4, s3
	s_cmp_eq_u32 s5, 0
	s_cselect_b32 s3, ttmp9, s4
	v_lshl_or_b32 v2, s3, 5, v0
	s_wait_kmcnt 0x0
	s_delay_alu instid0(VALU_DEP_1)
	v_cmp_gt_i32_e32 vcc_lo, s2, v2
	s_mov_b32 s2, 0
	s_and_saveexec_b32 s3, vcc_lo
	s_cbranch_execz .LBB1_4
; %bb.1:
	s_load_b512 s[4:19], s[0:1], 0x0
	v_mov_b32_e32 v3, 0
                                        ; implicit-def: $vgpr16_vgpr17
                                        ; implicit-def: $vgpr14_vgpr15
	s_wait_kmcnt 0x0
	s_delay_alu instid0(VALU_DEP_1) | instskip(NEXT) | instid1(VALU_DEP_1)
	v_mul_u64_e32 v[0:1], s[8:9], v[2:3]
	v_lshl_add_u64 v[0:1], v[0:1], 3, s[4:5]
	s_delay_alu instid0(VALU_DEP_1)
	v_lshl_add_u64 v[10:11], s[6:7], 3, v[0:1]
	v_mul_u64_e32 v[0:1], s[14:15], v[2:3]
	global_load_b64 v[18:19], v[10:11], off
	s_clause 0x1
	s_load_b256 s[20:27], s[0:1], 0x40
	s_load_b256 s[36:43], s[0:1], 0x60
	s_wait_xcnt 0x0
	s_mov_b32 s0, exec_lo
	s_wait_kmcnt 0x0
	v_mul_u64_e32 v[4:5], s[20:21], v[2:3]
	v_mul_u64_e32 v[6:7], s[40:41], v[2:3]
	v_lshl_add_u64 v[0:1], v[0:1], 3, s[10:11]
	s_delay_alu instid0(VALU_DEP_3) | instskip(NEXT) | instid1(VALU_DEP_3)
	v_lshl_add_u64 v[4:5], v[4:5], 3, s[16:17]
	v_lshl_add_u64 v[8:9], v[6:7], 3, s[36:37]
	s_delay_alu instid0(VALU_DEP_3) | instskip(NEXT) | instid1(VALU_DEP_3)
	v_lshl_add_u64 v[6:7], s[12:13], 3, v[0:1]
                                        ; implicit-def: $vgpr0_vgpr1
	v_lshl_add_u64 v[12:13], s[18:19], 3, v[4:5]
	s_delay_alu instid0(VALU_DEP_3)
	v_lshl_add_u64 v[4:5], s[38:39], 3, v[8:9]
                                        ; implicit-def: $vgpr8_vgpr9
	s_wait_loadcnt 0x0
	v_cmpx_ngt_f64_e32 0, v[18:19]
	s_xor_b32 s4, exec_lo, s0
	s_cbranch_execnz .LBB1_5
; %bb.2:
	s_and_not1_saveexec_b32 s0, s4
	s_cbranch_execnz .LBB1_35
.LBB1_3:
	s_or_b32 exec_lo, exec_lo, s0
	s_delay_alu instid0(SALU_CYCLE_1)
	s_and_b32 exec_lo, exec_lo, s2
	s_cbranch_execnz .LBB1_36
.LBB1_4:
	s_endpgm
.LBB1_5:
	v_mul_u64_e32 v[0:1], s[26:27], v[2:3]
	s_mov_b32 s1, exec_lo
	s_delay_alu instid0(VALU_DEP_1) | instskip(NEXT) | instid1(VALU_DEP_1)
	v_lshl_add_u64 v[0:1], v[0:1], 3, s[22:23]
	v_lshl_add_u64 v[24:25], s[24:25], 3, v[0:1]
	global_load_b64 v[26:27], v[6:7], off
	global_load_b64 v[20:21], v[24:25], off
	s_wait_loadcnt 0x0
	v_mul_f64_e32 v[22:23], v[26:27], v[20:21]
	s_delay_alu instid0(VALU_DEP_1)
	v_cmp_neq_f64_e64 s0, 0, v[22:23]
	v_cmpx_eq_f64_e32 0, v[22:23]
	s_xor_b32 s1, exec_lo, s1
	s_cbranch_execz .LBB1_7
; %bb.6:
	v_mov_b64_e32 v[0:1], -2.0
                                        ; implicit-def: $vgpr6_vgpr7
                                        ; implicit-def: $vgpr10_vgpr11
                                        ; implicit-def: $vgpr12_vgpr13
                                        ; implicit-def: $vgpr18_vgpr19
                                        ; implicit-def: $vgpr20_vgpr21
                                        ; implicit-def: $vgpr22_vgpr23
                                        ; implicit-def: $vgpr26_vgpr27
                                        ; implicit-def: $vgpr24_vgpr25
	global_store_b64 v[4:5], v[0:1], off
.LBB1_7:
	s_wait_xcnt 0x0
	s_or_saveexec_b32 s5, s1
	v_mov_b64_e32 v[0:1], 0
	v_mov_b64_e32 v[16:17], -2.0
	v_mov_b64_e32 v[2:3], 0
	v_mov_b64_e32 v[14:15], 0
	;; [unrolled: 1-line block ×3, first 2 shown]
	s_xor_b32 exec_lo, exec_lo, s5
	s_cbranch_execz .LBB1_34
; %bb.8:
	global_load_b64 v[28:29], v[12:13], off
	v_mul_f64_e32 v[2:3], v[20:21], v[22:23]
                                        ; implicit-def: $vgpr16_vgpr17
                                        ; implicit-def: $vgpr8_vgpr9
	s_wait_loadcnt 0x0
	v_mul_f64_e32 v[30:31], v[18:19], v[28:29]
	s_delay_alu instid0(VALU_DEP_1) | instskip(NEXT) | instid1(VALU_DEP_1)
	v_mul_f64_e32 v[0:1], v[28:29], v[30:31]
	v_cmp_ngt_f64_e64 s1, |v[0:1]|, |v[2:3]|
                                        ; implicit-def: $vgpr0_vgpr1
	s_wait_xcnt 0x0
	s_and_saveexec_b32 s2, s1
	s_delay_alu instid0(SALU_CYCLE_1)
	s_xor_b32 s2, exec_lo, s2
	s_cbranch_execz .LBB1_14
; %bb.9:
                                        ; implicit-def: $vgpr0_vgpr1
                                        ; implicit-def: $vgpr8_vgpr9
	s_mov_b32 s1, exec_lo
	v_cmpx_ngt_f64_e32 0, v[2:3]
	s_xor_b32 s3, exec_lo, s1
	s_cbranch_execz .LBB1_11
; %bb.10:
	v_div_scale_f64 v[0:1], null, v[22:23], v[22:23], v[30:31]
	v_div_scale_f64 v[2:3], null, v[20:21], v[20:21], v[28:29]
	v_div_scale_f64 v[34:35], vcc_lo, v[30:31], v[22:23], v[30:31]
	s_delay_alu instid0(VALU_DEP_3) | instskip(NEXT) | instid1(VALU_DEP_2)
	v_rcp_f64_e32 v[8:9], v[0:1]
	v_rcp_f64_e32 v[14:15], v[2:3]
	s_delay_alu instid0(TRANS32_DEP_2) | instskip(NEXT) | instid1(TRANS32_DEP_1)
	v_fma_f64 v[16:17], -v[0:1], v[8:9], 1.0
	v_fma_f64 v[32:33], -v[2:3], v[14:15], 1.0
	s_delay_alu instid0(VALU_DEP_2) | instskip(NEXT) | instid1(VALU_DEP_2)
	v_fmac_f64_e32 v[8:9], v[8:9], v[16:17]
	v_fmac_f64_e32 v[14:15], v[14:15], v[32:33]
	s_delay_alu instid0(VALU_DEP_2) | instskip(NEXT) | instid1(VALU_DEP_2)
	v_fma_f64 v[16:17], -v[0:1], v[8:9], 1.0
	v_fma_f64 v[32:33], -v[2:3], v[14:15], 1.0
	s_delay_alu instid0(VALU_DEP_2) | instskip(SKIP_1) | instid1(VALU_DEP_3)
	v_fmac_f64_e32 v[8:9], v[8:9], v[16:17]
	v_div_scale_f64 v[16:17], s1, v[28:29], v[20:21], v[28:29]
	v_fmac_f64_e32 v[14:15], v[14:15], v[32:33]
	s_delay_alu instid0(VALU_DEP_3) | instskip(NEXT) | instid1(VALU_DEP_2)
	v_mul_f64_e32 v[32:33], v[34:35], v[8:9]
	v_mul_f64_e32 v[36:37], v[16:17], v[14:15]
	s_delay_alu instid0(VALU_DEP_2) | instskip(NEXT) | instid1(VALU_DEP_2)
	v_fma_f64 v[0:1], -v[0:1], v[32:33], v[34:35]
	v_fma_f64 v[2:3], -v[2:3], v[36:37], v[16:17]
	s_delay_alu instid0(VALU_DEP_2) | instskip(SKIP_1) | instid1(VALU_DEP_2)
	v_div_fmas_f64 v[0:1], v[0:1], v[8:9], v[32:33]
	s_mov_b32 vcc_lo, s1
	v_div_fmas_f64 v[2:3], v[2:3], v[14:15], v[36:37]
	s_delay_alu instid0(VALU_DEP_2) | instskip(NEXT) | instid1(VALU_DEP_2)
	v_div_fixup_f64 v[0:1], v[0:1], v[22:23], v[30:31]
	v_div_fixup_f64 v[8:9], v[2:3], v[20:21], v[28:29]
	s_delay_alu instid0(VALU_DEP_1) | instskip(NEXT) | instid1(VALU_DEP_1)
	v_fma_f64 v[2:3], v[8:9], v[0:1], 1.0
	v_div_scale_f64 v[14:15], null, v[2:3], v[2:3], v[26:27]
	v_div_scale_f64 v[16:17], null, v[2:3], v[2:3], v[18:19]
	v_div_scale_f64 v[32:33], vcc_lo, v[26:27], v[2:3], v[26:27]
	s_delay_alu instid0(VALU_DEP_3) | instskip(NEXT) | instid1(VALU_DEP_2)
	v_rcp_f64_e32 v[20:21], v[14:15]
	v_rcp_f64_e32 v[22:23], v[16:17]
	s_delay_alu instid0(TRANS32_DEP_2) | instskip(NEXT) | instid1(TRANS32_DEP_1)
	v_fma_f64 v[28:29], -v[14:15], v[20:21], 1.0
	v_fma_f64 v[30:31], -v[16:17], v[22:23], 1.0
	s_delay_alu instid0(VALU_DEP_2) | instskip(NEXT) | instid1(VALU_DEP_2)
	v_fmac_f64_e32 v[20:21], v[20:21], v[28:29]
	v_fmac_f64_e32 v[22:23], v[22:23], v[30:31]
	s_delay_alu instid0(VALU_DEP_2) | instskip(NEXT) | instid1(VALU_DEP_2)
	v_fma_f64 v[28:29], -v[14:15], v[20:21], 1.0
	v_fma_f64 v[30:31], -v[16:17], v[22:23], 1.0
	s_delay_alu instid0(VALU_DEP_2) | instskip(SKIP_1) | instid1(VALU_DEP_3)
	v_fmac_f64_e32 v[20:21], v[20:21], v[28:29]
	v_div_scale_f64 v[28:29], s1, v[18:19], v[2:3], v[18:19]
	v_fmac_f64_e32 v[22:23], v[22:23], v[30:31]
	s_delay_alu instid0(VALU_DEP_3) | instskip(NEXT) | instid1(VALU_DEP_2)
	v_mul_f64_e32 v[30:31], v[32:33], v[20:21]
	v_mul_f64_e32 v[34:35], v[28:29], v[22:23]
	s_delay_alu instid0(VALU_DEP_2) | instskip(NEXT) | instid1(VALU_DEP_2)
	v_fma_f64 v[14:15], -v[14:15], v[30:31], v[32:33]
	v_fma_f64 v[16:17], -v[16:17], v[34:35], v[28:29]
	s_delay_alu instid0(VALU_DEP_2) | instskip(SKIP_1) | instid1(VALU_DEP_2)
	v_div_fmas_f64 v[14:15], v[14:15], v[20:21], v[30:31]
	s_mov_b32 vcc_lo, s1
	v_div_fmas_f64 v[16:17], v[16:17], v[22:23], v[34:35]
	s_delay_alu instid0(VALU_DEP_2) | instskip(NEXT) | instid1(VALU_DEP_2)
	v_div_fixup_f64 v[14:15], v[14:15], v[2:3], v[26:27]
	v_div_fixup_f64 v[16:17], v[16:17], v[2:3], v[18:19]
	global_store_b64 v[6:7], v[16:17], off
	global_store_b64 v[10:11], v[14:15], off
	global_load_b64 v[14:15], v[24:25], off
	s_wait_loadcnt 0x0
	v_mul_f64_e32 v[2:3], v[2:3], v[14:15]
	global_store_b64 v[12:13], v[2:3], off
.LBB1_11:
	s_wait_xcnt 0x0
	s_or_saveexec_b32 s1, s3
	v_mov_b64_e32 v[16:17], 1.0
	s_xor_b32 exec_lo, exec_lo, s1
	s_cbranch_execz .LBB1_13
; %bb.12:
	v_mov_b64_e32 v[0:1], 0
	v_mov_b64_e32 v[16:17], -1.0
	v_mov_b64_e32 v[8:9], 0
	global_store_b64 v[12:13], v[0:1], off
	global_store_b64 v[6:7], v[0:1], off
	global_store_b64 v[10:11], v[0:1], off
.LBB1_13:
	s_wait_xcnt 0x0
	s_or_b32 exec_lo, exec_lo, s1
                                        ; implicit-def: $vgpr28_vgpr29
                                        ; implicit-def: $vgpr20_vgpr21
                                        ; implicit-def: $vgpr30_vgpr31
                                        ; implicit-def: $vgpr22_vgpr23
                                        ; implicit-def: $vgpr18_vgpr19
.LBB1_14:
	s_or_saveexec_b32 s2, s2
	v_mov_b64_e32 v[14:15], 0
	v_mov_b64_e32 v[2:3], 0
	s_xor_b32 exec_lo, exec_lo, s2
	s_cbranch_execz .LBB1_18
; %bb.15:
	v_div_scale_f64 v[0:1], null, v[28:29], v[28:29], -v[20:21]
	v_div_scale_f64 v[2:3], null, v[30:31], v[30:31], v[22:23]
	v_div_scale_f64 v[26:27], vcc_lo, -v[20:21], v[28:29], -v[20:21]
	s_delay_alu instid0(VALU_DEP_3) | instskip(NEXT) | instid1(VALU_DEP_2)
	v_rcp_f64_e32 v[8:9], v[0:1]
	v_rcp_f64_e32 v[14:15], v[2:3]
	s_delay_alu instid0(TRANS32_DEP_2) | instskip(NEXT) | instid1(TRANS32_DEP_1)
	v_fma_f64 v[16:17], -v[0:1], v[8:9], 1.0
	v_fma_f64 v[24:25], -v[2:3], v[14:15], 1.0
	s_delay_alu instid0(VALU_DEP_2) | instskip(NEXT) | instid1(VALU_DEP_2)
	v_fmac_f64_e32 v[8:9], v[8:9], v[16:17]
	v_fmac_f64_e32 v[14:15], v[14:15], v[24:25]
	s_delay_alu instid0(VALU_DEP_2) | instskip(NEXT) | instid1(VALU_DEP_2)
	v_fma_f64 v[16:17], -v[0:1], v[8:9], 1.0
	v_fma_f64 v[24:25], -v[2:3], v[14:15], 1.0
	s_delay_alu instid0(VALU_DEP_2) | instskip(SKIP_1) | instid1(VALU_DEP_3)
	v_fmac_f64_e32 v[8:9], v[8:9], v[16:17]
	v_div_scale_f64 v[16:17], s1, v[22:23], v[30:31], v[22:23]
	v_fmac_f64_e32 v[14:15], v[14:15], v[24:25]
	s_delay_alu instid0(VALU_DEP_3) | instskip(NEXT) | instid1(VALU_DEP_2)
	v_mul_f64_e32 v[24:25], v[26:27], v[8:9]
	v_mul_f64_e32 v[32:33], v[16:17], v[14:15]
	s_delay_alu instid0(VALU_DEP_2) | instskip(NEXT) | instid1(VALU_DEP_2)
	v_fma_f64 v[0:1], -v[0:1], v[24:25], v[26:27]
	v_fma_f64 v[2:3], -v[2:3], v[32:33], v[16:17]
	v_mov_b64_e32 v[16:17], -1.0
	s_delay_alu instid0(VALU_DEP_3) | instskip(SKIP_2) | instid1(VALU_DEP_3)
	v_div_fmas_f64 v[0:1], v[0:1], v[8:9], v[24:25]
	s_mov_b32 vcc_lo, s1
	s_mov_b32 s1, exec_lo
	v_div_fmas_f64 v[8:9], v[2:3], v[14:15], v[32:33]
	s_delay_alu instid0(VALU_DEP_2) | instskip(NEXT) | instid1(VALU_DEP_2)
	v_div_fixup_f64 v[2:3], v[0:1], v[28:29], -v[20:21]
	v_div_fixup_f64 v[14:15], v[8:9], v[30:31], v[22:23]
	s_delay_alu instid0(VALU_DEP_1) | instskip(NEXT) | instid1(VALU_DEP_1)
	v_fma_f64 v[0:1], -v[2:3], v[14:15], 1.0
	v_cmpx_lt_f64_e32 0, v[0:1]
	s_cbranch_execz .LBB1_17
; %bb.16:
	v_div_scale_f64 v[8:9], null, v[0:1], v[0:1], v[18:19]
	v_div_scale_f64 v[22:23], vcc_lo, v[18:19], v[0:1], v[18:19]
	s_delay_alu instid0(VALU_DEP_2) | instskip(SKIP_1) | instid1(TRANS32_DEP_1)
	v_rcp_f64_e32 v[16:17], v[8:9]
	v_nop
	v_fma_f64 v[20:21], -v[8:9], v[16:17], 1.0
	s_delay_alu instid0(VALU_DEP_1) | instskip(NEXT) | instid1(VALU_DEP_1)
	v_fmac_f64_e32 v[16:17], v[16:17], v[20:21]
	v_fma_f64 v[20:21], -v[8:9], v[16:17], 1.0
	s_delay_alu instid0(VALU_DEP_1) | instskip(NEXT) | instid1(VALU_DEP_1)
	v_fmac_f64_e32 v[16:17], v[16:17], v[20:21]
	v_mul_f64_e32 v[20:21], v[22:23], v[16:17]
	s_delay_alu instid0(VALU_DEP_1) | instskip(NEXT) | instid1(VALU_DEP_1)
	v_fma_f64 v[8:9], -v[8:9], v[20:21], v[22:23]
	v_div_fmas_f64 v[8:9], v[8:9], v[16:17], v[20:21]
	s_delay_alu instid0(VALU_DEP_1) | instskip(SKIP_4) | instid1(VALU_DEP_1)
	v_div_fixup_f64 v[8:9], v[8:9], v[0:1], v[18:19]
	global_store_b64 v[10:11], v[8:9], off
	global_load_b64 v[8:9], v[6:7], off
	s_wait_loadcnt 0x0
	v_div_scale_f64 v[16:17], null, v[0:1], v[0:1], v[8:9]
	v_rcp_f64_e32 v[18:19], v[16:17]
	v_nop
	s_delay_alu instid0(TRANS32_DEP_1) | instskip(NEXT) | instid1(VALU_DEP_1)
	v_fma_f64 v[20:21], -v[16:17], v[18:19], 1.0
	v_fmac_f64_e32 v[18:19], v[18:19], v[20:21]
	s_delay_alu instid0(VALU_DEP_1) | instskip(NEXT) | instid1(VALU_DEP_1)
	v_fma_f64 v[20:21], -v[16:17], v[18:19], 1.0
	v_fmac_f64_e32 v[18:19], v[18:19], v[20:21]
	v_div_scale_f64 v[20:21], vcc_lo, v[8:9], v[0:1], v[8:9]
	s_delay_alu instid0(VALU_DEP_1) | instskip(NEXT) | instid1(VALU_DEP_1)
	v_mul_f64_e32 v[22:23], v[20:21], v[18:19]
	v_fma_f64 v[16:17], -v[16:17], v[22:23], v[20:21]
	s_delay_alu instid0(VALU_DEP_1) | instskip(NEXT) | instid1(VALU_DEP_1)
	v_div_fmas_f64 v[16:17], v[16:17], v[18:19], v[22:23]
	v_div_fixup_f64 v[8:9], v[16:17], v[0:1], v[8:9]
	v_mov_b64_e32 v[16:17], 0
	global_store_b64 v[6:7], v[8:9], off
	global_load_b64 v[8:9], v[12:13], off
	s_wait_loadcnt 0x0
	v_mul_f64_e32 v[0:1], v[0:1], v[8:9]
	global_store_b64 v[12:13], v[0:1], off
.LBB1_17:
	s_wait_xcnt 0x0
	s_or_b32 exec_lo, exec_lo, s1
	v_mov_b64_e32 v[8:9], 0
	v_mov_b64_e32 v[0:1], 0
.LBB1_18:
	s_or_b32 exec_lo, exec_lo, s2
	global_load_b64 v[18:19], v[10:11], off
	s_mov_b32 s3, exec_lo
	s_wait_loadcnt 0x0
	v_cmpx_neq_f64_e32 0, v[18:19]
	s_cbranch_execz .LBB1_25
; %bb.19:
	v_cmp_ge_f64_e64 s1, 0x3e700000, v[18:19]
	v_cmp_le_f64_e64 s2, 0x41700000, v[18:19]
	v_cmp_nge_f64_e32 vcc_lo, 0x3e700000, v[18:19]
	s_or_b32 s1, s1, s2
	s_delay_alu instid0(SALU_CYCLE_1)
	s_and_saveexec_b32 s6, s1
	s_cbranch_execz .LBB1_24
; %bb.20:
	v_cndmask_b32_e64 v20, 24, 0xffffffe8, vcc_lo
	v_mov_b32_e32 v22, 0x40b00000
	s_mov_b32 s7, 0
	s_delay_alu instid0(VALU_DEP_2)
	v_ldexp_f64 v[18:19], v[18:19], v20
	global_store_b64 v[10:11], v[18:19], off
	global_load_b64 v[20:21], v[12:13], off
	s_wait_xcnt 0x1
	v_dual_mov_b32 v18, 0 :: v_dual_cndmask_b32 v19, 0x3f300000, v22
	v_cmp_eq_f64_e32 vcc_lo, 0, v[16:17]
	v_cndmask_b32_e64 v1, v1, 0x3ff00000, vcc_lo
	v_cndmask_b32_e64 v0, v0, 0, vcc_lo
	v_cndmask_b32_e32 v15, 0x3ff00000, v15, vcc_lo
	v_cndmask_b32_e64 v9, v9, 0x3ff00000, vcc_lo
	v_cndmask_b32_e64 v8, v8, 0, vcc_lo
	v_cndmask_b32_e32 v3, 0xbff00000, v3, vcc_lo
	v_mul_f64_e32 v[0:1], v[0:1], v[18:19]
	v_cndmask_b32_e32 v2, 0, v2, vcc_lo
	v_cndmask_b32_e32 v14, 0, v14, vcc_lo
	s_delay_alu instid0(VALU_DEP_1)
	v_mul_f64_e32 v[14:15], v[14:15], v[18:19]
	s_wait_loadcnt 0x0
	v_mul_f64_e32 v[20:21], v[18:19], v[20:21]
	global_store_b64 v[12:13], v[20:21], off
	global_load_b64 v[20:21], v[10:11], off
	s_wait_loadcnt 0x0
	v_cmp_ge_f64_e64 s1, 0x3e700000, v[20:21]
	v_cmp_le_f64_e64 s2, 0x41700000, v[20:21]
	v_cmp_nge_f64_e64 s8, 0x3e700000, v[20:21]
	s_or_b32 s2, s1, s2
	s_wait_xcnt 0x0
	s_and_saveexec_b32 s1, s2
	s_cbranch_execz .LBB1_23
.LBB1_21:                               ; =>This Inner Loop Header: Depth=1
	v_cndmask_b32_e64 v2, 24, 0xffffffe8, s8
	v_cndmask_b32_e64 v19, 0x3f300000, v22, s8
	s_delay_alu instid0(VALU_DEP_2) | instskip(NEXT) | instid1(VALU_DEP_2)
	v_ldexp_f64 v[2:3], v[20:21], v2
	v_mul_f64_e32 v[0:1], v[18:19], v[0:1]
	global_store_b64 v[10:11], v[2:3], off
	global_load_b64 v[2:3], v[12:13], off
	s_wait_loadcnt 0x0
	v_mul_f64_e32 v[2:3], v[18:19], v[2:3]
	global_store_b64 v[12:13], v[2:3], off
	global_load_b64 v[20:21], v[10:11], off
	s_wait_loadcnt 0x0
	v_cmp_nge_f64_e64 s8, 0x3e700000, v[20:21]
	v_cmp_nle_f64_e32 vcc_lo, 0x41700000, v[20:21]
	s_and_b32 s2, s8, vcc_lo
	s_delay_alu instid0(SALU_CYCLE_1) | instskip(NEXT) | instid1(SALU_CYCLE_1)
	s_and_b32 s2, exec_lo, s2
	s_or_b32 s7, s2, s7
	s_wait_xcnt 0x0
	s_and_not1_b32 exec_lo, exec_lo, s7
	s_cbranch_execnz .LBB1_21
; %bb.22:
	s_or_b32 exec_lo, exec_lo, s7
	v_mov_b64_e32 v[2:3], -1.0
	v_mov_b64_e32 v[14:15], v[18:19]
.LBB1_23:
	s_or_b32 exec_lo, exec_lo, s1
	v_mov_b64_e32 v[16:17], -1.0
.LBB1_24:
	s_or_b32 exec_lo, exec_lo, s6
.LBB1_25:
	s_delay_alu instid0(SALU_CYCLE_1)
	s_or_b32 exec_lo, exec_lo, s3
	global_load_b64 v[10:11], v[6:7], off
	s_mov_b32 s6, exec_lo
	s_wait_loadcnt 0x0
	v_cmpx_neq_f64_e32 0, v[10:11]
	s_cbranch_execz .LBB1_33
; %bb.26:
	v_cmp_gt_f64_e32 vcc_lo, 0, v[10:11]
	v_xor_b32_e32 v13, 0x80000000, v11
	s_delay_alu instid0(VALU_DEP_1) | instskip(NEXT) | instid1(VALU_DEP_1)
	v_dual_mov_b32 v12, v10 :: v_dual_cndmask_b32 v13, v11, v13
	v_cmp_ge_f64_e64 s1, 0x3e700000, v[12:13]
	v_cmp_le_f64_e64 s2, 0x41700000, v[12:13]
	v_cmp_nge_f64_e32 vcc_lo, 0x3e700000, v[12:13]
	s_or_b32 s1, s1, s2
	s_delay_alu instid0(SALU_CYCLE_1)
	s_and_saveexec_b32 s7, s1
	s_cbranch_execz .LBB1_32
; %bb.27:
	v_cndmask_b32_e64 v12, 24, 0xffffffe8, vcc_lo
	v_mov_b32_e32 v13, 0x40b00000
	v_cmp_eq_f64_e64 s1, 0, v[16:17]
	s_mov_b32 s8, 0
	v_ldexp_f64 v[10:11], v[10:11], v12
	v_dual_mov_b32 v12, 0 :: v_dual_cndmask_b32 v13, 0x3f300000, v13
	v_cndmask_b32_e64 v9, v9, 0x3ff00000, s1
	v_cndmask_b32_e64 v3, 0xbff00000, v3, s1
	;; [unrolled: 1-line block ×3, first 2 shown]
	v_cmp_gt_f64_e32 vcc_lo, 0, v[10:11]
	v_xor_b32_e32 v17, 0x80000000, v11
	v_dual_cndmask_b32 v2, 0, v2, s1 :: v_dual_mov_b32 v16, v10
	s_delay_alu instid0(VALU_DEP_4)
	v_mul_f64_e32 v[8:9], v[8:9], v[12:13]
	v_cndmask_b32_e64 v15, 0x3ff00000, v15, s1
	v_cndmask_b32_e64 v1, v1, 0x3ff00000, s1
	;; [unrolled: 1-line block ×3, first 2 shown]
	global_store_b64 v[6:7], v[10:11], off
	v_dual_cndmask_b32 v14, 0, v14, s1 :: v_dual_cndmask_b32 v17, v11, v17, vcc_lo
	v_mul_f64_e32 v[2:3], v[2:3], v[12:13]
	s_delay_alu instid0(VALU_DEP_2)
	v_cmp_ge_f64_e64 s2, 0x3e700000, v[16:17]
	v_cmp_le_f64_e64 s3, 0x41700000, v[16:17]
	v_cmp_nge_f64_e32 vcc_lo, 0x3e700000, v[16:17]
	s_or_b32 s1, s2, s3
	s_wait_xcnt 0x0
	s_and_saveexec_b32 s2, s1
	s_cbranch_execz .LBB1_31
; %bb.28:
	v_mov_b32_e32 v2, 0x3e700000
	s_and_b32 s9, vcc_lo, exec_lo
                                        ; implicit-def: $sgpr3
.LBB1_29:                               ; =>This Inner Loop Header: Depth=1
	s_delay_alu instid0(VALU_DEP_1) | instid1(SALU_CYCLE_1)
	v_cndmask_b32_e64 v13, 0x41700000, v2, s9
	s_delay_alu instid0(VALU_DEP_1) | instskip(NEXT) | instid1(VALU_DEP_1)
	v_mul_f64_e32 v[10:11], v[12:13], v[10:11]
	v_cmp_gt_f64_e32 vcc_lo, 0, v[10:11]
	v_xor_b32_e32 v3, 0x80000000, v11
	s_delay_alu instid0(VALU_DEP_1) | instskip(SKIP_1) | instid1(VALU_DEP_2)
	v_dual_mov_b32 v14, v10 :: v_dual_cndmask_b32 v15, v11, v3
	v_cndmask_b32_e64 v3, -12, 12, s9
	v_cmp_nge_f64_e32 vcc_lo, 0x3e700000, v[14:15]
	v_cmp_nle_f64_e64 s1, 0x41700000, v[14:15]
	s_delay_alu instid0(VALU_DEP_3) | instskip(SKIP_1) | instid1(SALU_CYCLE_1)
	v_ldexp_f64 v[8:9], v[8:9], v3
	s_and_b32 s1, vcc_lo, s1
	s_and_b32 s1, exec_lo, s1
	s_delay_alu instid0(SALU_CYCLE_1)
	s_or_b32 s8, s1, s8
	s_and_not1_b32 s1, s9, exec_lo
	s_and_b32 s10, vcc_lo, exec_lo
	s_and_not1_b32 s3, s3, exec_lo
	s_and_b32 s9, s9, exec_lo
	s_or_b32 s1, s1, s10
	s_or_b32 s3, s3, s9
	s_mov_b32 s9, s1
	s_and_not1_b32 exec_lo, exec_lo, s8
	s_cbranch_execnz .LBB1_29
; %bb.30:
	s_or_b32 exec_lo, exec_lo, s8
	v_mov_b32_e32 v2, 0xc0b00000
	v_mov_b64_e32 v[14:15], 1.0
	global_store_b64 v[6:7], v[10:11], off
	v_cndmask_b32_e64 v3, 0xbf300000, v2, s3
	v_mov_b32_e32 v2, 0
.LBB1_31:
	s_wait_xcnt 0x0
	s_or_b32 exec_lo, exec_lo, s2
	v_mov_b64_e32 v[16:17], -1.0
.LBB1_32:
	s_or_b32 exec_lo, exec_lo, s7
.LBB1_33:
	s_delay_alu instid0(SALU_CYCLE_1)
	s_or_b32 exec_lo, exec_lo, s6
.LBB1_34:
	s_delay_alu instid0(SALU_CYCLE_1) | instskip(NEXT) | instid1(SALU_CYCLE_1)
	s_or_b32 exec_lo, exec_lo, s5
	s_and_b32 s2, s0, exec_lo
                                        ; implicit-def: $vgpr12_vgpr13
                                        ; implicit-def: $vgpr6_vgpr7
                                        ; implicit-def: $vgpr10_vgpr11
	s_and_not1_saveexec_b32 s0, s4
	s_cbranch_execz .LBB1_3
.LBB1_35:
	v_mov_b64_e32 v[0:1], 0
	v_mov_b64_e32 v[16:17], -1.0
	v_mov_b64_e32 v[2:3], 0
	v_mov_b64_e32 v[14:15], 0
	;; [unrolled: 1-line block ×3, first 2 shown]
	s_or_b32 s2, s2, exec_lo
	global_store_b64 v[12:13], v[0:1], off
	global_store_b64 v[6:7], v[0:1], off
	;; [unrolled: 1-line block ×3, first 2 shown]
	s_wait_xcnt 0x0
	s_or_b32 exec_lo, exec_lo, s0
	s_delay_alu instid0(SALU_CYCLE_1)
	s_and_b32 exec_lo, exec_lo, s2
	s_cbranch_execz .LBB1_4
.LBB1_36:
	s_mov_b32 s0, exec_lo
                                        ; implicit-def: $vgpr10_vgpr11
                                        ; implicit-def: $vgpr12_vgpr13
                                        ; implicit-def: $vgpr6_vgpr7
	v_cmpx_ngt_f64_e32 0, v[16:17]
	s_xor_b32 s0, exec_lo, s0
	s_cbranch_execz .LBB1_38
; %bb.37:
	v_cmp_eq_f64_e32 vcc_lo, 0, v[16:17]
	v_dual_mov_b32 v7, 0 :: v_dual_cndmask_b32 v13, v1, v3, vcc_lo
	v_cndmask_b32_e64 v6, 8, 16, vcc_lo
	s_delay_alu instid0(VALU_DEP_2)
	v_dual_mov_b32 v11, v7 :: v_dual_cndmask_b32 v12, v0, v2
	v_cndmask_b32_e64 v10, 32, 24, vcc_lo
	v_dual_cndmask_b32 v9, v9, v15 :: v_dual_cndmask_b32 v8, v8, v14
                                        ; implicit-def: $vgpr0_vgpr1
                                        ; implicit-def: $vgpr14_vgpr15
.LBB1_38:
	s_and_not1_saveexec_b32 s0, s0
	s_cbranch_execz .LBB1_40
; %bb.39:
	v_mov_b64_e32 v[10:11], 32
	v_mov_b64_e32 v[6:7], 24
	;; [unrolled: 1-line block ×3, first 2 shown]
	global_store_b128 v[4:5], v[0:3], off offset:8
.LBB1_40:
	s_wait_xcnt 0x0
	s_or_b32 exec_lo, exec_lo, s0
	v_add_nc_u64_e32 v[0:1], v[4:5], v[6:7]
	v_add_nc_u64_e32 v[2:3], v[4:5], v[10:11]
	s_clause 0x2
	global_store_b64 v[0:1], v[12:13], off
	global_store_b64 v[2:3], v[8:9], off
	;; [unrolled: 1-line block ×3, first 2 shown]
	s_endpgm
	.section	.rodata,"a",@progbits
	.p2align	6, 0x0
	.amdhsa_kernel _ZL20rocblas_rotmg_kernelILi32EPdPKdEvT0_llS3_llS3_llT1_llS3_lli
		.amdhsa_group_segment_fixed_size 0
		.amdhsa_private_segment_fixed_size 0
		.amdhsa_kernarg_size 124
		.amdhsa_user_sgpr_count 2
		.amdhsa_user_sgpr_dispatch_ptr 0
		.amdhsa_user_sgpr_queue_ptr 0
		.amdhsa_user_sgpr_kernarg_segment_ptr 1
		.amdhsa_user_sgpr_dispatch_id 0
		.amdhsa_user_sgpr_kernarg_preload_length 0
		.amdhsa_user_sgpr_kernarg_preload_offset 0
		.amdhsa_user_sgpr_private_segment_size 0
		.amdhsa_wavefront_size32 1
		.amdhsa_uses_dynamic_stack 0
		.amdhsa_enable_private_segment 0
		.amdhsa_system_sgpr_workgroup_id_x 1
		.amdhsa_system_sgpr_workgroup_id_y 0
		.amdhsa_system_sgpr_workgroup_id_z 0
		.amdhsa_system_sgpr_workgroup_info 0
		.amdhsa_system_vgpr_workitem_id 0
		.amdhsa_next_free_vgpr 38
		.amdhsa_next_free_sgpr 44
		.amdhsa_named_barrier_count 0
		.amdhsa_reserve_vcc 1
		.amdhsa_float_round_mode_32 0
		.amdhsa_float_round_mode_16_64 0
		.amdhsa_float_denorm_mode_32 3
		.amdhsa_float_denorm_mode_16_64 3
		.amdhsa_fp16_overflow 0
		.amdhsa_memory_ordered 1
		.amdhsa_forward_progress 1
		.amdhsa_inst_pref_size 23
		.amdhsa_round_robin_scheduling 0
		.amdhsa_exception_fp_ieee_invalid_op 0
		.amdhsa_exception_fp_denorm_src 0
		.amdhsa_exception_fp_ieee_div_zero 0
		.amdhsa_exception_fp_ieee_overflow 0
		.amdhsa_exception_fp_ieee_underflow 0
		.amdhsa_exception_fp_ieee_inexact 0
		.amdhsa_exception_int_div_zero 0
	.end_amdhsa_kernel
	.section	.text._ZL20rocblas_rotmg_kernelILi32EPdPKdEvT0_llS3_llS3_llT1_llS3_lli,"axG",@progbits,_ZL20rocblas_rotmg_kernelILi32EPdPKdEvT0_llS3_llS3_llT1_llS3_lli,comdat
.Lfunc_end1:
	.size	_ZL20rocblas_rotmg_kernelILi32EPdPKdEvT0_llS3_llS3_llT1_llS3_lli, .Lfunc_end1-_ZL20rocblas_rotmg_kernelILi32EPdPKdEvT0_llS3_llS3_llT1_llS3_lli
                                        ; -- End function
	.set _ZL20rocblas_rotmg_kernelILi32EPdPKdEvT0_llS3_llS3_llT1_llS3_lli.num_vgpr, 38
	.set _ZL20rocblas_rotmg_kernelILi32EPdPKdEvT0_llS3_llS3_llT1_llS3_lli.num_agpr, 0
	.set _ZL20rocblas_rotmg_kernelILi32EPdPKdEvT0_llS3_llS3_llT1_llS3_lli.numbered_sgpr, 44
	.set _ZL20rocblas_rotmg_kernelILi32EPdPKdEvT0_llS3_llS3_llT1_llS3_lli.num_named_barrier, 0
	.set _ZL20rocblas_rotmg_kernelILi32EPdPKdEvT0_llS3_llS3_llT1_llS3_lli.private_seg_size, 0
	.set _ZL20rocblas_rotmg_kernelILi32EPdPKdEvT0_llS3_llS3_llT1_llS3_lli.uses_vcc, 1
	.set _ZL20rocblas_rotmg_kernelILi32EPdPKdEvT0_llS3_llS3_llT1_llS3_lli.uses_flat_scratch, 0
	.set _ZL20rocblas_rotmg_kernelILi32EPdPKdEvT0_llS3_llS3_llT1_llS3_lli.has_dyn_sized_stack, 0
	.set _ZL20rocblas_rotmg_kernelILi32EPdPKdEvT0_llS3_llS3_llT1_llS3_lli.has_recursion, 0
	.set _ZL20rocblas_rotmg_kernelILi32EPdPKdEvT0_llS3_llS3_llT1_llS3_lli.has_indirect_call, 0
	.section	.AMDGPU.csdata,"",@progbits
; Kernel info:
; codeLenInByte = 2832
; TotalNumSgprs: 46
; NumVgprs: 38
; ScratchSize: 0
; MemoryBound: 0
; FloatMode: 240
; IeeeMode: 1
; LDSByteSize: 0 bytes/workgroup (compile time only)
; SGPRBlocks: 0
; VGPRBlocks: 2
; NumSGPRsForWavesPerEU: 46
; NumVGPRsForWavesPerEU: 38
; NamedBarCnt: 0
; Occupancy: 16
; WaveLimiterHint : 0
; COMPUTE_PGM_RSRC2:SCRATCH_EN: 0
; COMPUTE_PGM_RSRC2:USER_SGPR: 2
; COMPUTE_PGM_RSRC2:TRAP_HANDLER: 0
; COMPUTE_PGM_RSRC2:TGID_X_EN: 1
; COMPUTE_PGM_RSRC2:TGID_Y_EN: 0
; COMPUTE_PGM_RSRC2:TGID_Z_EN: 0
; COMPUTE_PGM_RSRC2:TIDIG_COMP_CNT: 0
	.section	.text._ZL20rocblas_rotmg_kernelILi32EPKPfPKPKfEvT0_llS7_llS7_llT1_llS7_lli,"axG",@progbits,_ZL20rocblas_rotmg_kernelILi32EPKPfPKPKfEvT0_llS7_llS7_llT1_llS7_lli,comdat
	.globl	_ZL20rocblas_rotmg_kernelILi32EPKPfPKPKfEvT0_llS7_llS7_llT1_llS7_lli ; -- Begin function _ZL20rocblas_rotmg_kernelILi32EPKPfPKPKfEvT0_llS7_llS7_llT1_llS7_lli
	.p2align	8
	.type	_ZL20rocblas_rotmg_kernelILi32EPKPfPKPKfEvT0_llS7_llS7_llT1_llS7_lli,@function
_ZL20rocblas_rotmg_kernelILi32EPKPfPKPKfEvT0_llS7_llS7_llT1_llS7_lli: ; @_ZL20rocblas_rotmg_kernelILi32EPKPfPKPKfEvT0_llS7_llS7_llT1_llS7_lli
; %bb.0:
	s_load_b32 s2, s[0:1], 0x78
	s_bfe_u32 s3, ttmp6, 0x4000c
	s_and_b32 s4, ttmp6, 15
	s_add_co_i32 s3, s3, 1
	s_getreg_b32 s5, hwreg(HW_REG_IB_STS2, 6, 4)
	s_mul_i32 s3, ttmp9, s3
	s_delay_alu instid0(SALU_CYCLE_1) | instskip(SKIP_2) | instid1(SALU_CYCLE_1)
	s_add_co_i32 s4, s4, s3
	s_cmp_eq_u32 s5, 0
	s_cselect_b32 s3, ttmp9, s4
	v_lshl_or_b32 v2, s3, 5, v0
	s_wait_kmcnt 0x0
	s_delay_alu instid0(VALU_DEP_1)
	v_cmp_gt_i32_e32 vcc_lo, s2, v2
	s_mov_b32 s2, 0
	s_and_saveexec_b32 s3, vcc_lo
	s_cbranch_execz .LBB2_4
; %bb.1:
	s_clause 0x1
	s_load_b128 s[4:7], s[0:1], 0x0
	s_load_b128 s[8:11], s[0:1], 0x18
                                        ; implicit-def: $vgpr18
                                        ; implicit-def: $vgpr17
                                        ; implicit-def: $vgpr16
	s_mov_b32 s3, exec_lo
	s_wait_kmcnt 0x0
	global_load_b64 v[0:1], v2, s[4:5] scale_offset
	s_clause 0x1
	s_load_b128 s[12:15], s[0:1], 0x30
	s_load_b128 s[16:19], s[0:1], 0x60
	global_load_b64 v[4:5], v2, s[8:9] scale_offset
	s_wait_kmcnt 0x0
	s_clause 0x1
	global_load_b64 v[8:9], v2, s[12:13] scale_offset
	global_load_b64 v[10:11], v2, s[16:17] scale_offset
	s_wait_loadcnt 0x3
	v_lshl_add_u64 v[6:7], s[6:7], 2, v[0:1]
	flat_load_b32 v19, v[6:7]
	s_wait_loadcnt 0x3
	v_lshl_add_u64 v[4:5], s[10:11], 2, v[4:5]
	s_wait_loadcnt 0x2
	v_lshl_add_u64 v[8:9], s[14:15], 2, v[8:9]
	s_wait_loadcnt 0x1
	v_lshl_add_u64 v[0:1], s[18:19], 2, v[10:11]
	s_wait_loadcnt_dscnt 0x0
	v_cmpx_ngt_f32_e32 0, v19
	s_xor_b32 s4, exec_lo, s3
	s_cbranch_execnz .LBB2_5
; %bb.2:
	s_and_not1_saveexec_b32 s0, s4
	s_cbranch_execnz .LBB2_35
.LBB2_3:
	s_or_b32 exec_lo, exec_lo, s0
	s_delay_alu instid0(SALU_CYCLE_1)
	s_and_b32 exec_lo, exec_lo, s2
	s_cbranch_execnz .LBB2_36
.LBB2_4:
	s_endpgm
.LBB2_5:
	s_load_b128 s[8:11], s[0:1], 0x48
	v_mov_b32_e32 v3, 0
	s_wait_xcnt 0x0
	s_mov_b32 s1, exec_lo
	s_wait_kmcnt 0x0
	s_delay_alu instid0(VALU_DEP_1)
	v_lshl_add_u64 v[10:11], v[2:3], 3, s[8:9]
	global_load_b64 v[10:11], v[10:11], off
	s_wait_loadcnt 0x0
	v_lshl_add_u64 v[14:15], s[10:11], 2, v[10:11]
	flat_load_b32 v20, v[4:5]
	flat_load_b32 v11, v[14:15]
	s_wait_loadcnt_dscnt 0x0
	v_mul_f32_e32 v13, v20, v11
	s_delay_alu instid0(VALU_DEP_1)
	v_cmp_neq_f32_e64 s0, 0, v13
	v_cmpx_eq_f32_e32 0, v13
	s_xor_b32 s1, exec_lo, s1
	s_cbranch_execz .LBB2_7
; %bb.6:
	v_mov_b32_e32 v2, -2.0
                                        ; implicit-def: $vgpr4_vgpr5
                                        ; implicit-def: $vgpr6_vgpr7
                                        ; implicit-def: $vgpr8_vgpr9
                                        ; implicit-def: $vgpr19
                                        ; implicit-def: $vgpr11
                                        ; implicit-def: $vgpr13
                                        ; implicit-def: $vgpr20
                                        ; implicit-def: $vgpr14_vgpr15
	flat_store_b32 v[0:1], v2
.LBB2_7:
	s_wait_xcnt 0x0
	s_or_saveexec_b32 s5, s1
	v_dual_mov_b32 v18, -2.0 :: v_dual_mov_b32 v2, 0
	v_dual_mov_b32 v17, 0 :: v_dual_mov_b32 v16, 0
	s_xor_b32 exec_lo, exec_lo, s5
	s_cbranch_execz .LBB2_34
; %bb.8:
	flat_load_b32 v10, v[8:9]
                                        ; implicit-def: $vgpr18
                                        ; implicit-def: $vgpr16
	s_wait_loadcnt_dscnt 0x0
	v_mul_f32_e32 v12, v19, v10
	s_delay_alu instid0(VALU_DEP_1) | instskip(NEXT) | instid1(VALU_DEP_1)
	v_pk_mul_f32 v[2:3], v[10:11], v[12:13]
	v_cmp_ngt_f32_e64 s1, |v2|, |v3|
                                        ; implicit-def: $vgpr2
	s_wait_xcnt 0x0
	s_and_saveexec_b32 s2, s1
	s_delay_alu instid0(SALU_CYCLE_1)
	s_xor_b32 s2, exec_lo, s2
	s_cbranch_execz .LBB2_14
; %bb.9:
                                        ; implicit-def: $vgpr2
                                        ; implicit-def: $vgpr16
	s_mov_b32 s1, exec_lo
	v_cmpx_ngt_f32_e32 0, v3
	s_xor_b32 s3, exec_lo, s1
	s_cbranch_execz .LBB2_11
; %bb.10:
	v_div_scale_f32 v2, null, v13, v13, v12
	v_div_scale_f32 v3, null, v11, v11, v10
	v_div_scale_f32 v22, vcc_lo, v12, v13, v12
	s_delay_alu instid0(VALU_DEP_3) | instskip(NEXT) | instid1(VALU_DEP_2)
	v_rcp_f32_e32 v16, v2
	v_rcp_f32_e32 v17, v3
	s_delay_alu instid0(TRANS32_DEP_2) | instskip(NEXT) | instid1(TRANS32_DEP_1)
	v_fma_f32 v18, -v2, v16, 1.0
	v_fma_f32 v21, -v3, v17, 1.0
	s_delay_alu instid0(VALU_DEP_1) | instskip(SKIP_1) | instid1(VALU_DEP_1)
	v_dual_fmac_f32 v16, v18, v16 :: v_dual_fmac_f32 v17, v21, v17
	v_div_scale_f32 v18, s1, v10, v11, v10
	v_mul_f32_e32 v23, v18, v17
	s_delay_alu instid0(VALU_DEP_1) | instskip(NEXT) | instid1(VALU_DEP_1)
	v_dual_mul_f32 v21, v22, v16 :: v_dual_fma_f32 v25, -v3, v23, v18
	v_fma_f32 v24, -v2, v21, v22
	s_delay_alu instid0(VALU_DEP_1) | instskip(NEXT) | instid1(VALU_DEP_1)
	v_dual_fmac_f32 v21, v24, v16 :: v_dual_fmac_f32 v23, v25, v17
	v_fma_f32 v2, -v2, v21, v22
	s_delay_alu instid0(VALU_DEP_2) | instskip(NEXT) | instid1(VALU_DEP_2)
	v_fma_f32 v3, -v3, v23, v18
	v_div_fmas_f32 v2, v2, v16, v21
	s_mov_b32 vcc_lo, s1
	s_delay_alu instid0(VALU_DEP_2) | instskip(NEXT) | instid1(VALU_DEP_2)
	v_div_fmas_f32 v3, v3, v17, v23
	v_div_fixup_f32 v2, v2, v13, v12
	s_delay_alu instid0(VALU_DEP_2) | instskip(NEXT) | instid1(VALU_DEP_1)
	v_div_fixup_f32 v16, v3, v11, v10
	v_fma_f32 v3, v16, v2, 1.0
	s_delay_alu instid0(VALU_DEP_1) | instskip(SKIP_2) | instid1(VALU_DEP_3)
	v_div_scale_f32 v10, null, v3, v3, v20
	v_div_scale_f32 v11, null, v3, v3, v19
	v_div_scale_f32 v21, vcc_lo, v20, v3, v20
	v_rcp_f32_e32 v12, v10
	s_delay_alu instid0(VALU_DEP_2) | instskip(NEXT) | instid1(TRANS32_DEP_2)
	v_rcp_f32_e32 v13, v11
	v_fma_f32 v17, -v10, v12, 1.0
	s_delay_alu instid0(TRANS32_DEP_1) | instskip(NEXT) | instid1(VALU_DEP_2)
	v_fma_f32 v18, -v11, v13, 1.0
	v_fmac_f32_e32 v12, v17, v12
	v_div_scale_f32 v17, s1, v19, v3, v19
	s_delay_alu instid0(VALU_DEP_2) | instskip(NEXT) | instid1(VALU_DEP_1)
	v_dual_fmac_f32 v13, v18, v13 :: v_dual_mul_f32 v18, v21, v12
	v_dual_mul_f32 v22, v17, v13 :: v_dual_fma_f32 v23, -v10, v18, v21
	s_delay_alu instid0(VALU_DEP_1) | instskip(NEXT) | instid1(VALU_DEP_2)
	v_fma_f32 v24, -v11, v22, v17
	v_fmac_f32_e32 v18, v23, v12
	s_delay_alu instid0(VALU_DEP_1) | instskip(NEXT) | instid1(VALU_DEP_1)
	v_dual_fmac_f32 v22, v24, v13 :: v_dual_fma_f32 v10, -v10, v18, v21
	v_fma_f32 v11, -v11, v22, v17
	s_delay_alu instid0(VALU_DEP_2) | instskip(SKIP_1) | instid1(VALU_DEP_2)
	v_div_fmas_f32 v10, v10, v12, v18
	s_mov_b32 vcc_lo, s1
	v_div_fmas_f32 v11, v11, v13, v22
	s_delay_alu instid0(VALU_DEP_2) | instskip(NEXT) | instid1(VALU_DEP_2)
	v_div_fixup_f32 v10, v10, v3, v20
	v_div_fixup_f32 v11, v11, v3, v19
	flat_store_b32 v[4:5], v11
	flat_store_b32 v[6:7], v10
	flat_load_b32 v10, v[14:15]
	s_wait_loadcnt_dscnt 0x0
	v_mul_f32_e32 v3, v3, v10
	flat_store_b32 v[8:9], v3
.LBB2_11:
	s_wait_xcnt 0x0
	s_or_saveexec_b32 s1, s3
	v_mov_b32_e32 v18, 1.0
	s_xor_b32 exec_lo, exec_lo, s1
	s_cbranch_execz .LBB2_13
; %bb.12:
	v_dual_mov_b32 v2, 0 :: v_dual_mov_b32 v18, -1.0
	v_mov_b32_e32 v16, 0
	flat_store_b32 v[8:9], v2
	flat_store_b32 v[4:5], v2
	;; [unrolled: 1-line block ×3, first 2 shown]
.LBB2_13:
	s_wait_xcnt 0x0
	s_or_b32 exec_lo, exec_lo, s1
                                        ; implicit-def: $vgpr10
                                        ; implicit-def: $vgpr12
                                        ; implicit-def: $vgpr19
.LBB2_14:
	s_or_saveexec_b32 s2, s2
	v_dual_mov_b32 v17, 0 :: v_dual_mov_b32 v3, 0
	s_xor_b32 exec_lo, exec_lo, s2
	s_cbranch_execz .LBB2_18
; %bb.15:
	v_div_scale_f32 v2, null, v10, v10, -v11
	v_div_scale_f32 v3, null, v12, v12, v13
	v_div_scale_f32 v18, vcc_lo, -v11, v10, -v11
	s_delay_alu instid0(VALU_DEP_3) | instskip(NEXT) | instid1(VALU_DEP_2)
	v_rcp_f32_e32 v14, v2
	v_rcp_f32_e32 v15, v3
	s_delay_alu instid0(TRANS32_DEP_2) | instskip(NEXT) | instid1(TRANS32_DEP_1)
	v_fma_f32 v16, -v2, v14, 1.0
	v_fma_f32 v17, -v3, v15, 1.0
	s_delay_alu instid0(VALU_DEP_1) | instskip(SKIP_1) | instid1(VALU_DEP_1)
	v_dual_fmac_f32 v14, v16, v14 :: v_dual_fmac_f32 v15, v17, v15
	v_div_scale_f32 v16, s1, v13, v12, v13
	v_dual_mul_f32 v17, v18, v14 :: v_dual_mul_f32 v20, v16, v15
	s_delay_alu instid0(VALU_DEP_1) | instskip(NEXT) | instid1(VALU_DEP_1)
	v_dual_fma_f32 v21, -v2, v17, v18 :: v_dual_fma_f32 v22, -v3, v20, v16
	v_dual_fmac_f32 v17, v21, v14 :: v_dual_fmac_f32 v20, v22, v15
	s_delay_alu instid0(VALU_DEP_1) | instskip(NEXT) | instid1(VALU_DEP_2)
	v_dual_fma_f32 v2, -v2, v17, v18 :: v_dual_mov_b32 v18, -1.0
	v_fma_f32 v3, -v3, v20, v16
	s_delay_alu instid0(VALU_DEP_2) | instskip(SKIP_2) | instid1(VALU_DEP_2)
	v_div_fmas_f32 v2, v2, v14, v17
	s_mov_b32 vcc_lo, s1
	s_mov_b32 s1, exec_lo
	v_div_fmas_f32 v14, v3, v15, v20
	s_delay_alu instid0(VALU_DEP_2) | instskip(NEXT) | instid1(VALU_DEP_2)
	v_div_fixup_f32 v3, v2, v10, -v11
	v_div_fixup_f32 v17, v14, v12, v13
	s_delay_alu instid0(VALU_DEP_1) | instskip(NEXT) | instid1(VALU_DEP_1)
	v_fma_f32 v2, -v3, v17, 1.0
	v_cmpx_lt_f32_e32 0, v2
	s_cbranch_execz .LBB2_17
; %bb.16:
	v_div_scale_f32 v10, null, v2, v2, v19
	v_div_scale_f32 v13, vcc_lo, v19, v2, v19
	v_mov_b32_e32 v18, 0
	s_delay_alu instid0(VALU_DEP_3) | instskip(SKIP_1) | instid1(TRANS32_DEP_1)
	v_rcp_f32_e32 v11, v10
	v_nop
	v_fma_f32 v12, -v10, v11, 1.0
	s_delay_alu instid0(VALU_DEP_1) | instskip(NEXT) | instid1(VALU_DEP_1)
	v_fmac_f32_e32 v11, v12, v11
	v_mul_f32_e32 v12, v13, v11
	s_delay_alu instid0(VALU_DEP_1) | instskip(NEXT) | instid1(VALU_DEP_1)
	v_fma_f32 v14, -v10, v12, v13
	v_fmac_f32_e32 v12, v14, v11
	s_delay_alu instid0(VALU_DEP_1) | instskip(NEXT) | instid1(VALU_DEP_1)
	v_fma_f32 v10, -v10, v12, v13
	v_div_fmas_f32 v10, v10, v11, v12
	s_delay_alu instid0(VALU_DEP_1) | instskip(SKIP_4) | instid1(VALU_DEP_1)
	v_div_fixup_f32 v10, v10, v2, v19
	flat_store_b32 v[6:7], v10
	flat_load_b32 v10, v[4:5]
	s_wait_loadcnt_dscnt 0x0
	v_div_scale_f32 v11, null, v2, v2, v10
	v_rcp_f32_e32 v12, v11
	v_nop
	s_delay_alu instid0(TRANS32_DEP_1) | instskip(NEXT) | instid1(VALU_DEP_1)
	v_fma_f32 v13, -v11, v12, 1.0
	v_fmac_f32_e32 v12, v13, v12
	v_div_scale_f32 v13, vcc_lo, v10, v2, v10
	s_delay_alu instid0(VALU_DEP_1) | instskip(NEXT) | instid1(VALU_DEP_1)
	v_mul_f32_e32 v14, v13, v12
	v_fma_f32 v15, -v11, v14, v13
	s_delay_alu instid0(VALU_DEP_1) | instskip(NEXT) | instid1(VALU_DEP_1)
	v_fmac_f32_e32 v14, v15, v12
	v_fma_f32 v11, -v11, v14, v13
	s_delay_alu instid0(VALU_DEP_1) | instskip(NEXT) | instid1(VALU_DEP_1)
	v_div_fmas_f32 v11, v11, v12, v14
	v_div_fixup_f32 v10, v11, v2, v10
	flat_store_b32 v[4:5], v10
	flat_load_b32 v10, v[8:9]
	s_wait_loadcnt_dscnt 0x0
	v_mul_f32_e32 v2, v2, v10
	flat_store_b32 v[8:9], v2
.LBB2_17:
	s_wait_xcnt 0x0
	s_or_b32 exec_lo, exec_lo, s1
	v_dual_mov_b32 v16, 0 :: v_dual_mov_b32 v2, 0
.LBB2_18:
	s_or_b32 exec_lo, exec_lo, s2
	flat_load_b32 v10, v[6:7]
	s_mov_b32 s3, exec_lo
	s_wait_loadcnt_dscnt 0x0
	v_cmpx_neq_f32_e32 0, v10
	s_cbranch_execz .LBB2_25
; %bb.19:
	v_cmp_ge_f32_e64 s1, 0x33800000, v10
	v_cmp_le_f32_e64 s2, 0x4b800000, v10
	v_cmp_nge_f32_e32 vcc_lo, 0x33800000, v10
	s_or_b32 s1, s1, s2
	s_delay_alu instid0(SALU_CYCLE_1)
	s_and_saveexec_b32 s6, s1
	s_cbranch_execz .LBB2_24
; %bb.20:
	v_cndmask_b32_e64 v11, 24, 0xffffffe8, vcc_lo
	s_mov_b32 s7, 0
	s_delay_alu instid0(VALU_DEP_1) | instskip(SKIP_4) | instid1(VALU_DEP_1)
	v_ldexp_f32 v10, v10, v11
	flat_store_b32 v[6:7], v10
	flat_load_b32 v11, v[8:9]
	s_wait_xcnt 0x1
	v_mov_b32_e32 v10, 0x45800000
	v_cndmask_b32_e32 v12, 0x39800000, v10, vcc_lo
	v_cmp_eq_f32_e32 vcc_lo, 0, v18
	v_dual_cndmask_b32 v13, 1.0, v17, vcc_lo :: v_dual_cndmask_b32 v3, -1.0, v3, vcc_lo
	v_cndmask_b32_e64 v2, v2, 1.0, vcc_lo
	s_delay_alu instid0(VALU_DEP_1)
	v_dual_mul_f32 v17, v13, v12 :: v_dual_mul_f32 v2, v2, v12
	s_wait_loadcnt_dscnt 0x0
	v_mul_f32_e32 v11, v12, v11
	flat_store_b32 v[8:9], v11
	flat_load_b32 v11, v[6:7]
	s_wait_loadcnt_dscnt 0x0
	v_cmp_ge_f32_e64 s1, 0x33800000, v11
	v_cmp_le_f32_e64 s2, 0x4b800000, v11
	v_cmp_nge_f32_e64 s8, 0x33800000, v11
	s_or_b32 s1, s1, s2
	s_wait_xcnt 0x0
	s_and_saveexec_b32 s2, s1
	s_cbranch_execz .LBB2_23
.LBB2_21:                               ; =>This Inner Loop Header: Depth=1
	v_cndmask_b32_e64 v3, 24, 0xffffffe8, s8
	v_cndmask_b32_e64 v17, 0x39800000, v10, s8
	s_delay_alu instid0(VALU_DEP_2) | instskip(NEXT) | instid1(VALU_DEP_2)
	v_ldexp_f32 v3, v11, v3
	v_mul_f32_e32 v2, v17, v2
	flat_store_b32 v[6:7], v3
	flat_load_b32 v3, v[8:9]
	s_wait_loadcnt_dscnt 0x0
	v_mul_f32_e32 v3, v17, v3
	flat_store_b32 v[8:9], v3
	flat_load_b32 v11, v[6:7]
	s_wait_loadcnt_dscnt 0x0
	v_cmp_nge_f32_e64 s8, 0x33800000, v11
	v_cmp_nle_f32_e64 s1, 0x4b800000, v11
	s_and_b32 s1, s8, s1
	s_delay_alu instid0(SALU_CYCLE_1) | instskip(NEXT) | instid1(SALU_CYCLE_1)
	s_and_b32 s1, exec_lo, s1
	s_or_b32 s7, s1, s7
	s_wait_xcnt 0x0
	s_and_not1_b32 exec_lo, exec_lo, s7
	s_cbranch_execnz .LBB2_21
; %bb.22:
	s_or_b32 exec_lo, exec_lo, s7
	v_mov_b32_e32 v3, -1.0
.LBB2_23:
	s_or_b32 exec_lo, exec_lo, s2
	v_cndmask_b32_e64 v16, v16, 1.0, vcc_lo
	v_mov_b32_e32 v18, -1.0
.LBB2_24:
	s_or_b32 exec_lo, exec_lo, s6
.LBB2_25:
	s_delay_alu instid0(SALU_CYCLE_1)
	s_or_b32 exec_lo, exec_lo, s3
	flat_load_b32 v6, v[4:5]
	s_mov_b32 s6, exec_lo
	s_wait_loadcnt_dscnt 0x0
	v_cmpx_neq_f32_e32 0, v6
	s_cbranch_execz .LBB2_33
; %bb.26:
	v_cmp_gt_f32_e32 vcc_lo, 0, v6
	v_cndmask_b32_e64 v7, v6, -v6, vcc_lo
	s_delay_alu instid0(VALU_DEP_1) | instskip(SKIP_3) | instid1(SALU_CYCLE_1)
	v_cmp_ge_f32_e32 vcc_lo, 0x33800000, v7
	v_cmp_le_f32_e64 s2, 0x4b800000, v7
	v_cmp_nge_f32_e64 s1, 0x33800000, v7
	s_or_b32 s2, vcc_lo, s2
	s_and_saveexec_b32 s7, s2
	s_cbranch_execz .LBB2_32
; %bb.27:
	v_cndmask_b32_e64 v7, 24, 0xffffffe8, s1
	v_cmp_eq_f32_e32 vcc_lo, 0, v18
	v_mov_b32_e32 v8, 0x45800000
	s_delay_alu instid0(VALU_DEP_3) | instskip(SKIP_1) | instid1(VALU_DEP_3)
	v_ldexp_f32 v6, v6, v7
	v_cndmask_b32_e32 v3, -1.0, v3, vcc_lo
	v_cndmask_b32_e64 v8, 0x39800000, v8, s1
	v_cndmask_b32_e64 v7, v16, 1.0, vcc_lo
	v_cndmask_b32_e32 v17, 1.0, v17, vcc_lo
	v_cmp_gt_f32_e64 s1, 0, v6
	flat_store_b32 v[4:5], v6
	v_mul_f32_e32 v3, v3, v8
	v_dual_mul_f32 v16, v7, v8 :: v_dual_cndmask_b32 v9, v6, -v6, s1
	s_delay_alu instid0(VALU_DEP_1)
	v_cmp_ge_f32_e64 s2, 0x33800000, v9
	v_cmp_le_f32_e64 s3, 0x4b800000, v9
	v_cmp_nge_f32_e64 s1, 0x33800000, v9
	s_or_b32 s2, s2, s3
	s_wait_xcnt 0x0
	s_and_saveexec_b32 s3, s2
	s_cbranch_execz .LBB2_31
; %bb.28:
	v_mov_b32_e32 v3, 0x33800000
	s_mov_b32 s8, 0
	s_and_b32 s10, s1, exec_lo
                                        ; implicit-def: $sgpr9
.LBB2_29:                               ; =>This Inner Loop Header: Depth=1
	s_delay_alu instid0(VALU_DEP_1) | instid1(SALU_CYCLE_1)
	v_cndmask_b32_e64 v7, 0x4b800000, v3, s10
	s_delay_alu instid0(VALU_DEP_1) | instskip(NEXT) | instid1(VALU_DEP_1)
	v_mul_f32_e32 v6, v7, v6
	v_cmp_gt_f32_e64 s1, 0, v6
	s_delay_alu instid0(VALU_DEP_1) | instskip(NEXT) | instid1(VALU_DEP_1)
	v_cndmask_b32_e64 v7, v6, -v6, s1
	v_cmp_nge_f32_e64 s1, 0x33800000, v7
	v_cmp_nle_f32_e64 s2, 0x4b800000, v7
	v_cndmask_b32_e64 v7, -12, 12, s10
	s_and_b32 s2, s1, s2
	s_delay_alu instid0(VALU_DEP_1) | instskip(SKIP_1) | instid1(SALU_CYCLE_1)
	v_ldexp_f32 v16, v16, v7
	s_and_b32 s2, exec_lo, s2
	s_or_b32 s8, s2, s8
	s_and_not1_b32 s2, s10, exec_lo
	s_and_b32 s1, s1, exec_lo
	s_and_not1_b32 s9, s9, exec_lo
	s_and_b32 s10, s10, exec_lo
	s_or_b32 s1, s2, s1
	s_or_b32 s9, s9, s10
	s_mov_b32 s10, s1
	s_and_not1_b32 exec_lo, exec_lo, s8
	s_cbranch_execnz .LBB2_29
; %bb.30:
	s_or_b32 exec_lo, exec_lo, s8
	v_mov_b32_e32 v3, 0xc5800000
	v_mov_b32_e32 v17, 1.0
	flat_store_b32 v[4:5], v6
	v_cndmask_b32_e64 v3, 0xb9800000, v3, s9
.LBB2_31:
	s_wait_xcnt 0x0
	s_or_b32 exec_lo, exec_lo, s3
	v_cndmask_b32_e64 v2, v2, 1.0, vcc_lo
	v_mov_b32_e32 v18, -1.0
.LBB2_32:
	s_or_b32 exec_lo, exec_lo, s7
.LBB2_33:
	s_delay_alu instid0(SALU_CYCLE_1)
	s_or_b32 exec_lo, exec_lo, s6
.LBB2_34:
	s_delay_alu instid0(SALU_CYCLE_1) | instskip(NEXT) | instid1(SALU_CYCLE_1)
	s_or_b32 exec_lo, exec_lo, s5
	s_and_b32 s2, s0, exec_lo
                                        ; implicit-def: $vgpr8_vgpr9
                                        ; implicit-def: $vgpr4_vgpr5
                                        ; implicit-def: $vgpr6_vgpr7
	s_and_not1_saveexec_b32 s0, s4
	s_cbranch_execz .LBB2_3
.LBB2_35:
	v_dual_mov_b32 v3, 0 :: v_dual_mov_b32 v18, -1.0
	v_dual_mov_b32 v2, 0 :: v_dual_mov_b32 v17, 0
	v_mov_b32_e32 v16, 0
	s_or_b32 s2, s2, exec_lo
	flat_store_b32 v[8:9], v3
	flat_store_b32 v[4:5], v3
	;; [unrolled: 1-line block ×3, first 2 shown]
	s_wait_xcnt 0x0
	s_or_b32 exec_lo, exec_lo, s0
	s_delay_alu instid0(SALU_CYCLE_1)
	s_and_b32 exec_lo, exec_lo, s2
	s_cbranch_execz .LBB2_4
.LBB2_36:
	s_mov_b32 s0, exec_lo
                                        ; implicit-def: $vgpr6_vgpr7
                                        ; implicit-def: $vgpr8
                                        ; implicit-def: $vgpr4_vgpr5
	v_cmpx_ngt_f32_e32 0, v18
	s_xor_b32 s0, exec_lo, s0
; %bb.37:
	v_cmp_eq_f32_e32 vcc_lo, 0, v18
	v_dual_mov_b32 v5, 0 :: v_dual_cndmask_b32 v8, v2, v3
	v_cndmask_b32_e64 v4, 4, 8, vcc_lo
	v_cndmask_b32_e64 v6, 16, 12, vcc_lo
	s_delay_alu instid0(VALU_DEP_3)
	v_dual_mov_b32 v7, v5 :: v_dual_cndmask_b32 v16, v16, v17
                                        ; implicit-def: $vgpr2
                                        ; implicit-def: $vgpr17
; %bb.38:
	s_and_not1_saveexec_b32 s0, s0
	s_cbranch_execz .LBB2_40
; %bb.39:
	v_mov_b64_e32 v[6:7], 16
	v_mov_b64_e32 v[4:5], 12
	v_mov_b32_e32 v8, v17
	flat_store_b64 v[0:1], v[2:3] offset:4
.LBB2_40:
	s_wait_xcnt 0x0
	s_or_b32 exec_lo, exec_lo, s0
	v_add_nc_u64_e32 v[2:3], v[0:1], v[4:5]
	v_add_nc_u64_e32 v[4:5], v[0:1], v[6:7]
	s_clause 0x2
	flat_store_b32 v[2:3], v8
	flat_store_b32 v[4:5], v16
	;; [unrolled: 1-line block ×3, first 2 shown]
	s_endpgm
	.section	.rodata,"a",@progbits
	.p2align	6, 0x0
	.amdhsa_kernel _ZL20rocblas_rotmg_kernelILi32EPKPfPKPKfEvT0_llS7_llS7_llT1_llS7_lli
		.amdhsa_group_segment_fixed_size 0
		.amdhsa_private_segment_fixed_size 0
		.amdhsa_kernarg_size 124
		.amdhsa_user_sgpr_count 2
		.amdhsa_user_sgpr_dispatch_ptr 0
		.amdhsa_user_sgpr_queue_ptr 0
		.amdhsa_user_sgpr_kernarg_segment_ptr 1
		.amdhsa_user_sgpr_dispatch_id 0
		.amdhsa_user_sgpr_kernarg_preload_length 0
		.amdhsa_user_sgpr_kernarg_preload_offset 0
		.amdhsa_user_sgpr_private_segment_size 0
		.amdhsa_wavefront_size32 1
		.amdhsa_uses_dynamic_stack 0
		.amdhsa_enable_private_segment 0
		.amdhsa_system_sgpr_workgroup_id_x 1
		.amdhsa_system_sgpr_workgroup_id_y 0
		.amdhsa_system_sgpr_workgroup_id_z 0
		.amdhsa_system_sgpr_workgroup_info 0
		.amdhsa_system_vgpr_workitem_id 0
		.amdhsa_next_free_vgpr 26
		.amdhsa_next_free_sgpr 20
		.amdhsa_named_barrier_count 0
		.amdhsa_reserve_vcc 1
		.amdhsa_float_round_mode_32 0
		.amdhsa_float_round_mode_16_64 0
		.amdhsa_float_denorm_mode_32 3
		.amdhsa_float_denorm_mode_16_64 3
		.amdhsa_fp16_overflow 0
		.amdhsa_memory_ordered 1
		.amdhsa_forward_progress 1
		.amdhsa_inst_pref_size 22
		.amdhsa_round_robin_scheduling 0
		.amdhsa_exception_fp_ieee_invalid_op 0
		.amdhsa_exception_fp_denorm_src 0
		.amdhsa_exception_fp_ieee_div_zero 0
		.amdhsa_exception_fp_ieee_overflow 0
		.amdhsa_exception_fp_ieee_underflow 0
		.amdhsa_exception_fp_ieee_inexact 0
		.amdhsa_exception_int_div_zero 0
	.end_amdhsa_kernel
	.section	.text._ZL20rocblas_rotmg_kernelILi32EPKPfPKPKfEvT0_llS7_llS7_llT1_llS7_lli,"axG",@progbits,_ZL20rocblas_rotmg_kernelILi32EPKPfPKPKfEvT0_llS7_llS7_llT1_llS7_lli,comdat
.Lfunc_end2:
	.size	_ZL20rocblas_rotmg_kernelILi32EPKPfPKPKfEvT0_llS7_llS7_llT1_llS7_lli, .Lfunc_end2-_ZL20rocblas_rotmg_kernelILi32EPKPfPKPKfEvT0_llS7_llS7_llT1_llS7_lli
                                        ; -- End function
	.set _ZL20rocblas_rotmg_kernelILi32EPKPfPKPKfEvT0_llS7_llS7_llT1_llS7_lli.num_vgpr, 26
	.set _ZL20rocblas_rotmg_kernelILi32EPKPfPKPKfEvT0_llS7_llS7_llT1_llS7_lli.num_agpr, 0
	.set _ZL20rocblas_rotmg_kernelILi32EPKPfPKPKfEvT0_llS7_llS7_llT1_llS7_lli.numbered_sgpr, 20
	.set _ZL20rocblas_rotmg_kernelILi32EPKPfPKPKfEvT0_llS7_llS7_llT1_llS7_lli.num_named_barrier, 0
	.set _ZL20rocblas_rotmg_kernelILi32EPKPfPKPKfEvT0_llS7_llS7_llT1_llS7_lli.private_seg_size, 0
	.set _ZL20rocblas_rotmg_kernelILi32EPKPfPKPKfEvT0_llS7_llS7_llT1_llS7_lli.uses_vcc, 1
	.set _ZL20rocblas_rotmg_kernelILi32EPKPfPKPKfEvT0_llS7_llS7_llT1_llS7_lli.uses_flat_scratch, 1
	.set _ZL20rocblas_rotmg_kernelILi32EPKPfPKPKfEvT0_llS7_llS7_llT1_llS7_lli.has_dyn_sized_stack, 0
	.set _ZL20rocblas_rotmg_kernelILi32EPKPfPKPKfEvT0_llS7_llS7_llT1_llS7_lli.has_recursion, 0
	.set _ZL20rocblas_rotmg_kernelILi32EPKPfPKPKfEvT0_llS7_llS7_llT1_llS7_lli.has_indirect_call, 0
	.section	.AMDGPU.csdata,"",@progbits
; Kernel info:
; codeLenInByte = 2724
; TotalNumSgprs: 22
; NumVgprs: 26
; ScratchSize: 0
; MemoryBound: 0
; FloatMode: 240
; IeeeMode: 1
; LDSByteSize: 0 bytes/workgroup (compile time only)
; SGPRBlocks: 0
; VGPRBlocks: 1
; NumSGPRsForWavesPerEU: 22
; NumVGPRsForWavesPerEU: 26
; NamedBarCnt: 0
; Occupancy: 16
; WaveLimiterHint : 1
; COMPUTE_PGM_RSRC2:SCRATCH_EN: 0
; COMPUTE_PGM_RSRC2:USER_SGPR: 2
; COMPUTE_PGM_RSRC2:TRAP_HANDLER: 0
; COMPUTE_PGM_RSRC2:TGID_X_EN: 1
; COMPUTE_PGM_RSRC2:TGID_Y_EN: 0
; COMPUTE_PGM_RSRC2:TGID_Z_EN: 0
; COMPUTE_PGM_RSRC2:TIDIG_COMP_CNT: 0
	.section	.text._ZL20rocblas_rotmg_kernelILi32EPKPdPKPKdEvT0_llS7_llS7_llT1_llS7_lli,"axG",@progbits,_ZL20rocblas_rotmg_kernelILi32EPKPdPKPKdEvT0_llS7_llS7_llT1_llS7_lli,comdat
	.globl	_ZL20rocblas_rotmg_kernelILi32EPKPdPKPKdEvT0_llS7_llS7_llT1_llS7_lli ; -- Begin function _ZL20rocblas_rotmg_kernelILi32EPKPdPKPKdEvT0_llS7_llS7_llT1_llS7_lli
	.p2align	8
	.type	_ZL20rocblas_rotmg_kernelILi32EPKPdPKPKdEvT0_llS7_llS7_llT1_llS7_lli,@function
_ZL20rocblas_rotmg_kernelILi32EPKPdPKPKdEvT0_llS7_llS7_llT1_llS7_lli: ; @_ZL20rocblas_rotmg_kernelILi32EPKPdPKPKdEvT0_llS7_llS7_llT1_llS7_lli
; %bb.0:
	s_load_b32 s2, s[0:1], 0x78
	s_bfe_u32 s3, ttmp6, 0x4000c
	s_and_b32 s4, ttmp6, 15
	s_add_co_i32 s3, s3, 1
	s_getreg_b32 s5, hwreg(HW_REG_IB_STS2, 6, 4)
	s_mul_i32 s3, ttmp9, s3
	s_delay_alu instid0(SALU_CYCLE_1) | instskip(SKIP_2) | instid1(SALU_CYCLE_1)
	s_add_co_i32 s4, s4, s3
	s_cmp_eq_u32 s5, 0
	s_cselect_b32 s3, ttmp9, s4
	v_lshl_or_b32 v2, s3, 5, v0
	s_wait_kmcnt 0x0
	s_delay_alu instid0(VALU_DEP_1)
	v_cmp_gt_i32_e32 vcc_lo, s2, v2
	s_mov_b32 s2, 0
	s_and_saveexec_b32 s3, vcc_lo
	s_cbranch_execz .LBB3_4
; %bb.1:
	s_clause 0x1
	s_load_b128 s[4:7], s[0:1], 0x0
	s_load_b128 s[8:11], s[0:1], 0x18
                                        ; implicit-def: $vgpr16_vgpr17
	s_mov_b32 s3, exec_lo
	s_wait_kmcnt 0x0
	global_load_b64 v[0:1], v2, s[4:5] scale_offset
	s_clause 0x1
	s_load_b128 s[12:15], s[0:1], 0x30
	s_load_b128 s[16:19], s[0:1], 0x60
	global_load_b64 v[4:5], v2, s[8:9] scale_offset
	s_wait_kmcnt 0x0
	s_clause 0x1
	global_load_b64 v[8:9], v2, s[12:13] scale_offset
	global_load_b64 v[14:15], v2, s[16:17] scale_offset
	s_wait_loadcnt 0x3
	v_lshl_add_u64 v[10:11], s[6:7], 3, v[0:1]
                                        ; implicit-def: $vgpr0_vgpr1
	flat_load_b64 v[18:19], v[10:11]
	s_wait_loadcnt 0x3
	v_lshl_add_u64 v[6:7], s[10:11], 3, v[4:5]
	s_wait_loadcnt 0x2
	v_lshl_add_u64 v[12:13], s[14:15], 3, v[8:9]
	;; [unrolled: 2-line block ×3, first 2 shown]
                                        ; implicit-def: $vgpr14_vgpr15
                                        ; implicit-def: $vgpr8_vgpr9
	s_wait_loadcnt_dscnt 0x0
	v_cmpx_ngt_f64_e32 0, v[18:19]
	s_xor_b32 s4, exec_lo, s3
	s_cbranch_execnz .LBB3_5
; %bb.2:
	s_and_not1_saveexec_b32 s0, s4
	s_cbranch_execnz .LBB3_35
.LBB3_3:
	s_or_b32 exec_lo, exec_lo, s0
	s_delay_alu instid0(SALU_CYCLE_1)
	s_and_b32 exec_lo, exec_lo, s2
	s_cbranch_execnz .LBB3_36
.LBB3_4:
	s_endpgm
.LBB3_5:
	s_load_b128 s[8:11], s[0:1], 0x48
	v_mov_b32_e32 v3, 0
	s_wait_xcnt 0x0
	s_mov_b32 s1, exec_lo
	s_wait_kmcnt 0x0
	s_delay_alu instid0(VALU_DEP_1)
	v_lshl_add_u64 v[0:1], v[2:3], 3, s[8:9]
	global_load_b64 v[0:1], v[0:1], off
	s_wait_loadcnt 0x0
	v_lshl_add_u64 v[24:25], s[10:11], 3, v[0:1]
	flat_load_b64 v[26:27], v[6:7]
	flat_load_b64 v[20:21], v[24:25]
	s_wait_loadcnt_dscnt 0x0
	v_mul_f64_e32 v[22:23], v[26:27], v[20:21]
	s_delay_alu instid0(VALU_DEP_1)
	v_cmp_neq_f64_e64 s0, 0, v[22:23]
	v_cmpx_eq_f64_e32 0, v[22:23]
	s_xor_b32 s1, exec_lo, s1
	s_cbranch_execz .LBB3_7
; %bb.6:
	v_mov_b64_e32 v[0:1], -2.0
                                        ; implicit-def: $vgpr6_vgpr7
                                        ; implicit-def: $vgpr10_vgpr11
                                        ; implicit-def: $vgpr12_vgpr13
                                        ; implicit-def: $vgpr18_vgpr19
                                        ; implicit-def: $vgpr20_vgpr21
                                        ; implicit-def: $vgpr22_vgpr23
                                        ; implicit-def: $vgpr26_vgpr27
                                        ; implicit-def: $vgpr24_vgpr25
	flat_store_b64 v[4:5], v[0:1]
.LBB3_7:
	s_wait_xcnt 0x0
	s_or_saveexec_b32 s5, s1
	v_mov_b64_e32 v[0:1], 0
	v_mov_b64_e32 v[16:17], -2.0
	v_mov_b64_e32 v[2:3], 0
	v_mov_b64_e32 v[14:15], 0
	;; [unrolled: 1-line block ×3, first 2 shown]
	s_xor_b32 exec_lo, exec_lo, s5
	s_cbranch_execz .LBB3_34
; %bb.8:
	flat_load_b64 v[28:29], v[12:13]
	v_mul_f64_e32 v[2:3], v[20:21], v[22:23]
                                        ; implicit-def: $vgpr16_vgpr17
                                        ; implicit-def: $vgpr8_vgpr9
	s_wait_loadcnt_dscnt 0x0
	v_mul_f64_e32 v[30:31], v[18:19], v[28:29]
	s_delay_alu instid0(VALU_DEP_1) | instskip(NEXT) | instid1(VALU_DEP_1)
	v_mul_f64_e32 v[0:1], v[28:29], v[30:31]
	v_cmp_ngt_f64_e64 s1, |v[0:1]|, |v[2:3]|
                                        ; implicit-def: $vgpr0_vgpr1
	s_wait_xcnt 0x0
	s_and_saveexec_b32 s2, s1
	s_delay_alu instid0(SALU_CYCLE_1)
	s_xor_b32 s2, exec_lo, s2
	s_cbranch_execz .LBB3_14
; %bb.9:
                                        ; implicit-def: $vgpr0_vgpr1
                                        ; implicit-def: $vgpr8_vgpr9
	s_mov_b32 s1, exec_lo
	v_cmpx_ngt_f64_e32 0, v[2:3]
	s_xor_b32 s3, exec_lo, s1
	s_cbranch_execz .LBB3_11
; %bb.10:
	v_div_scale_f64 v[0:1], null, v[22:23], v[22:23], v[30:31]
	v_div_scale_f64 v[2:3], null, v[20:21], v[20:21], v[28:29]
	v_div_scale_f64 v[34:35], vcc_lo, v[30:31], v[22:23], v[30:31]
	s_delay_alu instid0(VALU_DEP_3) | instskip(NEXT) | instid1(VALU_DEP_2)
	v_rcp_f64_e32 v[8:9], v[0:1]
	v_rcp_f64_e32 v[14:15], v[2:3]
	s_delay_alu instid0(TRANS32_DEP_2) | instskip(NEXT) | instid1(TRANS32_DEP_1)
	v_fma_f64 v[16:17], -v[0:1], v[8:9], 1.0
	v_fma_f64 v[32:33], -v[2:3], v[14:15], 1.0
	s_delay_alu instid0(VALU_DEP_2) | instskip(NEXT) | instid1(VALU_DEP_2)
	v_fmac_f64_e32 v[8:9], v[8:9], v[16:17]
	v_fmac_f64_e32 v[14:15], v[14:15], v[32:33]
	s_delay_alu instid0(VALU_DEP_2) | instskip(NEXT) | instid1(VALU_DEP_2)
	v_fma_f64 v[16:17], -v[0:1], v[8:9], 1.0
	v_fma_f64 v[32:33], -v[2:3], v[14:15], 1.0
	s_delay_alu instid0(VALU_DEP_2) | instskip(SKIP_1) | instid1(VALU_DEP_3)
	v_fmac_f64_e32 v[8:9], v[8:9], v[16:17]
	v_div_scale_f64 v[16:17], s1, v[28:29], v[20:21], v[28:29]
	v_fmac_f64_e32 v[14:15], v[14:15], v[32:33]
	s_delay_alu instid0(VALU_DEP_3) | instskip(NEXT) | instid1(VALU_DEP_2)
	v_mul_f64_e32 v[32:33], v[34:35], v[8:9]
	v_mul_f64_e32 v[36:37], v[16:17], v[14:15]
	s_delay_alu instid0(VALU_DEP_2) | instskip(NEXT) | instid1(VALU_DEP_2)
	v_fma_f64 v[0:1], -v[0:1], v[32:33], v[34:35]
	v_fma_f64 v[2:3], -v[2:3], v[36:37], v[16:17]
	s_delay_alu instid0(VALU_DEP_2) | instskip(SKIP_1) | instid1(VALU_DEP_2)
	v_div_fmas_f64 v[0:1], v[0:1], v[8:9], v[32:33]
	s_mov_b32 vcc_lo, s1
	v_div_fmas_f64 v[2:3], v[2:3], v[14:15], v[36:37]
	s_delay_alu instid0(VALU_DEP_2) | instskip(NEXT) | instid1(VALU_DEP_2)
	v_div_fixup_f64 v[0:1], v[0:1], v[22:23], v[30:31]
	v_div_fixup_f64 v[8:9], v[2:3], v[20:21], v[28:29]
	s_delay_alu instid0(VALU_DEP_1) | instskip(NEXT) | instid1(VALU_DEP_1)
	v_fma_f64 v[2:3], v[8:9], v[0:1], 1.0
	v_div_scale_f64 v[14:15], null, v[2:3], v[2:3], v[26:27]
	v_div_scale_f64 v[16:17], null, v[2:3], v[2:3], v[18:19]
	v_div_scale_f64 v[32:33], vcc_lo, v[26:27], v[2:3], v[26:27]
	s_delay_alu instid0(VALU_DEP_3) | instskip(NEXT) | instid1(VALU_DEP_2)
	v_rcp_f64_e32 v[20:21], v[14:15]
	v_rcp_f64_e32 v[22:23], v[16:17]
	s_delay_alu instid0(TRANS32_DEP_2) | instskip(NEXT) | instid1(TRANS32_DEP_1)
	v_fma_f64 v[28:29], -v[14:15], v[20:21], 1.0
	v_fma_f64 v[30:31], -v[16:17], v[22:23], 1.0
	s_delay_alu instid0(VALU_DEP_2) | instskip(NEXT) | instid1(VALU_DEP_2)
	v_fmac_f64_e32 v[20:21], v[20:21], v[28:29]
	v_fmac_f64_e32 v[22:23], v[22:23], v[30:31]
	s_delay_alu instid0(VALU_DEP_2) | instskip(NEXT) | instid1(VALU_DEP_2)
	v_fma_f64 v[28:29], -v[14:15], v[20:21], 1.0
	v_fma_f64 v[30:31], -v[16:17], v[22:23], 1.0
	s_delay_alu instid0(VALU_DEP_2) | instskip(SKIP_1) | instid1(VALU_DEP_3)
	v_fmac_f64_e32 v[20:21], v[20:21], v[28:29]
	v_div_scale_f64 v[28:29], s1, v[18:19], v[2:3], v[18:19]
	v_fmac_f64_e32 v[22:23], v[22:23], v[30:31]
	s_delay_alu instid0(VALU_DEP_3) | instskip(NEXT) | instid1(VALU_DEP_2)
	v_mul_f64_e32 v[30:31], v[32:33], v[20:21]
	v_mul_f64_e32 v[34:35], v[28:29], v[22:23]
	s_delay_alu instid0(VALU_DEP_2) | instskip(NEXT) | instid1(VALU_DEP_2)
	v_fma_f64 v[14:15], -v[14:15], v[30:31], v[32:33]
	v_fma_f64 v[16:17], -v[16:17], v[34:35], v[28:29]
	s_delay_alu instid0(VALU_DEP_2) | instskip(SKIP_1) | instid1(VALU_DEP_2)
	v_div_fmas_f64 v[14:15], v[14:15], v[20:21], v[30:31]
	s_mov_b32 vcc_lo, s1
	v_div_fmas_f64 v[16:17], v[16:17], v[22:23], v[34:35]
	s_delay_alu instid0(VALU_DEP_2) | instskip(NEXT) | instid1(VALU_DEP_2)
	v_div_fixup_f64 v[14:15], v[14:15], v[2:3], v[26:27]
	v_div_fixup_f64 v[16:17], v[16:17], v[2:3], v[18:19]
	flat_store_b64 v[6:7], v[16:17]
	flat_store_b64 v[10:11], v[14:15]
	flat_load_b64 v[14:15], v[24:25]
	s_wait_loadcnt_dscnt 0x0
	v_mul_f64_e32 v[2:3], v[2:3], v[14:15]
	flat_store_b64 v[12:13], v[2:3]
.LBB3_11:
	s_wait_xcnt 0x0
	s_or_saveexec_b32 s1, s3
	v_mov_b64_e32 v[16:17], 1.0
	s_xor_b32 exec_lo, exec_lo, s1
	s_cbranch_execz .LBB3_13
; %bb.12:
	v_mov_b64_e32 v[0:1], 0
	v_mov_b64_e32 v[16:17], -1.0
	v_mov_b64_e32 v[8:9], 0
	flat_store_b64 v[12:13], v[0:1]
	flat_store_b64 v[6:7], v[0:1]
	;; [unrolled: 1-line block ×3, first 2 shown]
.LBB3_13:
	s_wait_xcnt 0x0
	s_or_b32 exec_lo, exec_lo, s1
                                        ; implicit-def: $vgpr28_vgpr29
                                        ; implicit-def: $vgpr20_vgpr21
                                        ; implicit-def: $vgpr30_vgpr31
                                        ; implicit-def: $vgpr22_vgpr23
                                        ; implicit-def: $vgpr18_vgpr19
.LBB3_14:
	s_or_saveexec_b32 s2, s2
	v_mov_b64_e32 v[14:15], 0
	v_mov_b64_e32 v[2:3], 0
	s_xor_b32 exec_lo, exec_lo, s2
	s_cbranch_execz .LBB3_18
; %bb.15:
	v_div_scale_f64 v[0:1], null, v[28:29], v[28:29], -v[20:21]
	v_div_scale_f64 v[2:3], null, v[30:31], v[30:31], v[22:23]
	v_div_scale_f64 v[26:27], vcc_lo, -v[20:21], v[28:29], -v[20:21]
	s_delay_alu instid0(VALU_DEP_3) | instskip(NEXT) | instid1(VALU_DEP_2)
	v_rcp_f64_e32 v[8:9], v[0:1]
	v_rcp_f64_e32 v[14:15], v[2:3]
	s_delay_alu instid0(TRANS32_DEP_2) | instskip(NEXT) | instid1(TRANS32_DEP_1)
	v_fma_f64 v[16:17], -v[0:1], v[8:9], 1.0
	v_fma_f64 v[24:25], -v[2:3], v[14:15], 1.0
	s_delay_alu instid0(VALU_DEP_2) | instskip(NEXT) | instid1(VALU_DEP_2)
	v_fmac_f64_e32 v[8:9], v[8:9], v[16:17]
	v_fmac_f64_e32 v[14:15], v[14:15], v[24:25]
	s_delay_alu instid0(VALU_DEP_2) | instskip(NEXT) | instid1(VALU_DEP_2)
	v_fma_f64 v[16:17], -v[0:1], v[8:9], 1.0
	v_fma_f64 v[24:25], -v[2:3], v[14:15], 1.0
	s_delay_alu instid0(VALU_DEP_2) | instskip(SKIP_1) | instid1(VALU_DEP_3)
	v_fmac_f64_e32 v[8:9], v[8:9], v[16:17]
	v_div_scale_f64 v[16:17], s1, v[22:23], v[30:31], v[22:23]
	v_fmac_f64_e32 v[14:15], v[14:15], v[24:25]
	s_delay_alu instid0(VALU_DEP_3) | instskip(NEXT) | instid1(VALU_DEP_2)
	v_mul_f64_e32 v[24:25], v[26:27], v[8:9]
	v_mul_f64_e32 v[32:33], v[16:17], v[14:15]
	s_delay_alu instid0(VALU_DEP_2) | instskip(NEXT) | instid1(VALU_DEP_2)
	v_fma_f64 v[0:1], -v[0:1], v[24:25], v[26:27]
	v_fma_f64 v[2:3], -v[2:3], v[32:33], v[16:17]
	v_mov_b64_e32 v[16:17], -1.0
	s_delay_alu instid0(VALU_DEP_3) | instskip(SKIP_2) | instid1(VALU_DEP_3)
	v_div_fmas_f64 v[0:1], v[0:1], v[8:9], v[24:25]
	s_mov_b32 vcc_lo, s1
	s_mov_b32 s1, exec_lo
	v_div_fmas_f64 v[8:9], v[2:3], v[14:15], v[32:33]
	s_delay_alu instid0(VALU_DEP_2) | instskip(NEXT) | instid1(VALU_DEP_2)
	v_div_fixup_f64 v[2:3], v[0:1], v[28:29], -v[20:21]
	v_div_fixup_f64 v[14:15], v[8:9], v[30:31], v[22:23]
	s_delay_alu instid0(VALU_DEP_1) | instskip(NEXT) | instid1(VALU_DEP_1)
	v_fma_f64 v[0:1], -v[2:3], v[14:15], 1.0
	v_cmpx_lt_f64_e32 0, v[0:1]
	s_cbranch_execz .LBB3_17
; %bb.16:
	v_div_scale_f64 v[8:9], null, v[0:1], v[0:1], v[18:19]
	v_div_scale_f64 v[22:23], vcc_lo, v[18:19], v[0:1], v[18:19]
	s_delay_alu instid0(VALU_DEP_2) | instskip(SKIP_1) | instid1(TRANS32_DEP_1)
	v_rcp_f64_e32 v[16:17], v[8:9]
	v_nop
	v_fma_f64 v[20:21], -v[8:9], v[16:17], 1.0
	s_delay_alu instid0(VALU_DEP_1) | instskip(NEXT) | instid1(VALU_DEP_1)
	v_fmac_f64_e32 v[16:17], v[16:17], v[20:21]
	v_fma_f64 v[20:21], -v[8:9], v[16:17], 1.0
	s_delay_alu instid0(VALU_DEP_1) | instskip(NEXT) | instid1(VALU_DEP_1)
	v_fmac_f64_e32 v[16:17], v[16:17], v[20:21]
	v_mul_f64_e32 v[20:21], v[22:23], v[16:17]
	s_delay_alu instid0(VALU_DEP_1) | instskip(NEXT) | instid1(VALU_DEP_1)
	v_fma_f64 v[8:9], -v[8:9], v[20:21], v[22:23]
	v_div_fmas_f64 v[8:9], v[8:9], v[16:17], v[20:21]
	s_delay_alu instid0(VALU_DEP_1) | instskip(SKIP_4) | instid1(VALU_DEP_1)
	v_div_fixup_f64 v[8:9], v[8:9], v[0:1], v[18:19]
	flat_store_b64 v[10:11], v[8:9]
	flat_load_b64 v[8:9], v[6:7]
	s_wait_loadcnt_dscnt 0x0
	v_div_scale_f64 v[16:17], null, v[0:1], v[0:1], v[8:9]
	v_rcp_f64_e32 v[18:19], v[16:17]
	v_nop
	s_delay_alu instid0(TRANS32_DEP_1) | instskip(NEXT) | instid1(VALU_DEP_1)
	v_fma_f64 v[20:21], -v[16:17], v[18:19], 1.0
	v_fmac_f64_e32 v[18:19], v[18:19], v[20:21]
	s_delay_alu instid0(VALU_DEP_1) | instskip(NEXT) | instid1(VALU_DEP_1)
	v_fma_f64 v[20:21], -v[16:17], v[18:19], 1.0
	v_fmac_f64_e32 v[18:19], v[18:19], v[20:21]
	v_div_scale_f64 v[20:21], vcc_lo, v[8:9], v[0:1], v[8:9]
	s_delay_alu instid0(VALU_DEP_1) | instskip(NEXT) | instid1(VALU_DEP_1)
	v_mul_f64_e32 v[22:23], v[20:21], v[18:19]
	v_fma_f64 v[16:17], -v[16:17], v[22:23], v[20:21]
	s_delay_alu instid0(VALU_DEP_1) | instskip(NEXT) | instid1(VALU_DEP_1)
	v_div_fmas_f64 v[16:17], v[16:17], v[18:19], v[22:23]
	v_div_fixup_f64 v[8:9], v[16:17], v[0:1], v[8:9]
	v_mov_b64_e32 v[16:17], 0
	flat_store_b64 v[6:7], v[8:9]
	flat_load_b64 v[8:9], v[12:13]
	s_wait_loadcnt_dscnt 0x0
	v_mul_f64_e32 v[0:1], v[0:1], v[8:9]
	flat_store_b64 v[12:13], v[0:1]
.LBB3_17:
	s_wait_xcnt 0x0
	s_or_b32 exec_lo, exec_lo, s1
	v_mov_b64_e32 v[8:9], 0
	v_mov_b64_e32 v[0:1], 0
.LBB3_18:
	s_or_b32 exec_lo, exec_lo, s2
	flat_load_b64 v[18:19], v[10:11]
	s_mov_b32 s3, exec_lo
	s_wait_loadcnt_dscnt 0x0
	v_cmpx_neq_f64_e32 0, v[18:19]
	s_cbranch_execz .LBB3_25
; %bb.19:
	v_cmp_ge_f64_e64 s1, 0x3e700000, v[18:19]
	v_cmp_le_f64_e64 s2, 0x41700000, v[18:19]
	v_cmp_nge_f64_e32 vcc_lo, 0x3e700000, v[18:19]
	s_or_b32 s1, s1, s2
	s_delay_alu instid0(SALU_CYCLE_1)
	s_and_saveexec_b32 s6, s1
	s_cbranch_execz .LBB3_24
; %bb.20:
	v_cndmask_b32_e64 v20, 24, 0xffffffe8, vcc_lo
	v_mov_b32_e32 v22, 0x40b00000
	s_mov_b32 s7, 0
	s_delay_alu instid0(VALU_DEP_2)
	v_ldexp_f64 v[18:19], v[18:19], v20
	flat_store_b64 v[10:11], v[18:19]
	flat_load_b64 v[20:21], v[12:13]
	s_wait_xcnt 0x1
	v_dual_mov_b32 v18, 0 :: v_dual_cndmask_b32 v19, 0x3f300000, v22
	v_cmp_eq_f64_e32 vcc_lo, 0, v[16:17]
	v_cndmask_b32_e64 v1, v1, 0x3ff00000, vcc_lo
	v_cndmask_b32_e64 v0, v0, 0, vcc_lo
	v_cndmask_b32_e32 v15, 0x3ff00000, v15, vcc_lo
	v_cndmask_b32_e64 v9, v9, 0x3ff00000, vcc_lo
	v_cndmask_b32_e64 v8, v8, 0, vcc_lo
	v_cndmask_b32_e32 v3, 0xbff00000, v3, vcc_lo
	v_mul_f64_e32 v[0:1], v[0:1], v[18:19]
	v_cndmask_b32_e32 v2, 0, v2, vcc_lo
	v_cndmask_b32_e32 v14, 0, v14, vcc_lo
	s_delay_alu instid0(VALU_DEP_1)
	v_mul_f64_e32 v[14:15], v[14:15], v[18:19]
	s_wait_loadcnt_dscnt 0x0
	v_mul_f64_e32 v[20:21], v[18:19], v[20:21]
	flat_store_b64 v[12:13], v[20:21]
	flat_load_b64 v[20:21], v[10:11]
	s_wait_loadcnt_dscnt 0x0
	v_cmp_ge_f64_e64 s1, 0x3e700000, v[20:21]
	v_cmp_le_f64_e64 s2, 0x41700000, v[20:21]
	v_cmp_nge_f64_e64 s8, 0x3e700000, v[20:21]
	s_or_b32 s2, s1, s2
	s_wait_xcnt 0x0
	s_and_saveexec_b32 s1, s2
	s_cbranch_execz .LBB3_23
.LBB3_21:                               ; =>This Inner Loop Header: Depth=1
	v_cndmask_b32_e64 v2, 24, 0xffffffe8, s8
	v_cndmask_b32_e64 v19, 0x3f300000, v22, s8
	s_delay_alu instid0(VALU_DEP_2) | instskip(NEXT) | instid1(VALU_DEP_2)
	v_ldexp_f64 v[2:3], v[20:21], v2
	v_mul_f64_e32 v[0:1], v[18:19], v[0:1]
	flat_store_b64 v[10:11], v[2:3]
	flat_load_b64 v[2:3], v[12:13]
	s_wait_loadcnt_dscnt 0x0
	v_mul_f64_e32 v[2:3], v[18:19], v[2:3]
	flat_store_b64 v[12:13], v[2:3]
	flat_load_b64 v[20:21], v[10:11]
	s_wait_loadcnt_dscnt 0x0
	v_cmp_nge_f64_e64 s8, 0x3e700000, v[20:21]
	v_cmp_nle_f64_e32 vcc_lo, 0x41700000, v[20:21]
	s_and_b32 s2, s8, vcc_lo
	s_delay_alu instid0(SALU_CYCLE_1) | instskip(NEXT) | instid1(SALU_CYCLE_1)
	s_and_b32 s2, exec_lo, s2
	s_or_b32 s7, s2, s7
	s_wait_xcnt 0x0
	s_and_not1_b32 exec_lo, exec_lo, s7
	s_cbranch_execnz .LBB3_21
; %bb.22:
	s_or_b32 exec_lo, exec_lo, s7
	v_mov_b64_e32 v[2:3], -1.0
	v_mov_b64_e32 v[14:15], v[18:19]
.LBB3_23:
	s_or_b32 exec_lo, exec_lo, s1
	v_mov_b64_e32 v[16:17], -1.0
.LBB3_24:
	s_or_b32 exec_lo, exec_lo, s6
.LBB3_25:
	s_delay_alu instid0(SALU_CYCLE_1)
	s_or_b32 exec_lo, exec_lo, s3
	flat_load_b64 v[10:11], v[6:7]
	s_mov_b32 s6, exec_lo
	s_wait_loadcnt_dscnt 0x0
	v_cmpx_neq_f64_e32 0, v[10:11]
	s_cbranch_execz .LBB3_33
; %bb.26:
	v_cmp_gt_f64_e32 vcc_lo, 0, v[10:11]
	v_xor_b32_e32 v13, 0x80000000, v11
	s_delay_alu instid0(VALU_DEP_1) | instskip(NEXT) | instid1(VALU_DEP_1)
	v_dual_mov_b32 v12, v10 :: v_dual_cndmask_b32 v13, v11, v13
	v_cmp_ge_f64_e64 s1, 0x3e700000, v[12:13]
	v_cmp_le_f64_e64 s2, 0x41700000, v[12:13]
	v_cmp_nge_f64_e32 vcc_lo, 0x3e700000, v[12:13]
	s_or_b32 s1, s1, s2
	s_delay_alu instid0(SALU_CYCLE_1)
	s_and_saveexec_b32 s7, s1
	s_cbranch_execz .LBB3_32
; %bb.27:
	v_cndmask_b32_e64 v12, 24, 0xffffffe8, vcc_lo
	v_mov_b32_e32 v13, 0x40b00000
	v_cmp_eq_f64_e64 s1, 0, v[16:17]
	s_mov_b32 s8, 0
	v_ldexp_f64 v[10:11], v[10:11], v12
	v_dual_mov_b32 v12, 0 :: v_dual_cndmask_b32 v13, 0x3f300000, v13
	v_cndmask_b32_e64 v9, v9, 0x3ff00000, s1
	v_cndmask_b32_e64 v3, 0xbff00000, v3, s1
	v_cndmask_b32_e64 v8, v8, 0, s1
	v_cmp_gt_f64_e32 vcc_lo, 0, v[10:11]
	v_xor_b32_e32 v17, 0x80000000, v11
	v_dual_cndmask_b32 v2, 0, v2, s1 :: v_dual_mov_b32 v16, v10
	s_delay_alu instid0(VALU_DEP_4)
	v_mul_f64_e32 v[8:9], v[8:9], v[12:13]
	v_cndmask_b32_e64 v15, 0x3ff00000, v15, s1
	v_cndmask_b32_e64 v1, v1, 0x3ff00000, s1
	;; [unrolled: 1-line block ×3, first 2 shown]
	flat_store_b64 v[6:7], v[10:11]
	v_dual_cndmask_b32 v14, 0, v14, s1 :: v_dual_cndmask_b32 v17, v11, v17, vcc_lo
	v_mul_f64_e32 v[2:3], v[2:3], v[12:13]
	s_delay_alu instid0(VALU_DEP_2)
	v_cmp_ge_f64_e64 s2, 0x3e700000, v[16:17]
	v_cmp_le_f64_e64 s3, 0x41700000, v[16:17]
	v_cmp_nge_f64_e32 vcc_lo, 0x3e700000, v[16:17]
	s_or_b32 s1, s2, s3
	s_wait_xcnt 0x0
	s_and_saveexec_b32 s2, s1
	s_cbranch_execz .LBB3_31
; %bb.28:
	v_mov_b32_e32 v2, 0x3e700000
	s_and_b32 s9, vcc_lo, exec_lo
                                        ; implicit-def: $sgpr3
.LBB3_29:                               ; =>This Inner Loop Header: Depth=1
	s_delay_alu instid0(VALU_DEP_1) | instid1(SALU_CYCLE_1)
	v_cndmask_b32_e64 v13, 0x41700000, v2, s9
	s_delay_alu instid0(VALU_DEP_1) | instskip(NEXT) | instid1(VALU_DEP_1)
	v_mul_f64_e32 v[10:11], v[12:13], v[10:11]
	v_cmp_gt_f64_e32 vcc_lo, 0, v[10:11]
	v_xor_b32_e32 v3, 0x80000000, v11
	s_delay_alu instid0(VALU_DEP_1) | instskip(SKIP_1) | instid1(VALU_DEP_2)
	v_dual_mov_b32 v14, v10 :: v_dual_cndmask_b32 v15, v11, v3
	v_cndmask_b32_e64 v3, -12, 12, s9
	v_cmp_nge_f64_e32 vcc_lo, 0x3e700000, v[14:15]
	v_cmp_nle_f64_e64 s1, 0x41700000, v[14:15]
	s_delay_alu instid0(VALU_DEP_3) | instskip(SKIP_1) | instid1(SALU_CYCLE_1)
	v_ldexp_f64 v[8:9], v[8:9], v3
	s_and_b32 s1, vcc_lo, s1
	s_and_b32 s1, exec_lo, s1
	s_delay_alu instid0(SALU_CYCLE_1)
	s_or_b32 s8, s1, s8
	s_and_not1_b32 s1, s9, exec_lo
	s_and_b32 s10, vcc_lo, exec_lo
	s_and_not1_b32 s3, s3, exec_lo
	s_and_b32 s9, s9, exec_lo
	s_or_b32 s1, s1, s10
	s_or_b32 s3, s3, s9
	s_mov_b32 s9, s1
	s_and_not1_b32 exec_lo, exec_lo, s8
	s_cbranch_execnz .LBB3_29
; %bb.30:
	s_or_b32 exec_lo, exec_lo, s8
	v_mov_b32_e32 v2, 0xc0b00000
	v_mov_b64_e32 v[14:15], 1.0
	flat_store_b64 v[6:7], v[10:11]
	v_cndmask_b32_e64 v3, 0xbf300000, v2, s3
	v_mov_b32_e32 v2, 0
.LBB3_31:
	s_wait_xcnt 0x0
	s_or_b32 exec_lo, exec_lo, s2
	v_mov_b64_e32 v[16:17], -1.0
.LBB3_32:
	s_or_b32 exec_lo, exec_lo, s7
.LBB3_33:
	s_delay_alu instid0(SALU_CYCLE_1)
	s_or_b32 exec_lo, exec_lo, s6
.LBB3_34:
	s_delay_alu instid0(SALU_CYCLE_1) | instskip(NEXT) | instid1(SALU_CYCLE_1)
	s_or_b32 exec_lo, exec_lo, s5
	s_and_b32 s2, s0, exec_lo
                                        ; implicit-def: $vgpr12_vgpr13
                                        ; implicit-def: $vgpr6_vgpr7
                                        ; implicit-def: $vgpr10_vgpr11
	s_and_not1_saveexec_b32 s0, s4
	s_cbranch_execz .LBB3_3
.LBB3_35:
	v_mov_b64_e32 v[0:1], 0
	v_mov_b64_e32 v[16:17], -1.0
	v_mov_b64_e32 v[2:3], 0
	v_mov_b64_e32 v[14:15], 0
	;; [unrolled: 1-line block ×3, first 2 shown]
	s_or_b32 s2, s2, exec_lo
	flat_store_b64 v[12:13], v[0:1]
	flat_store_b64 v[6:7], v[0:1]
	;; [unrolled: 1-line block ×3, first 2 shown]
	s_wait_xcnt 0x0
	s_or_b32 exec_lo, exec_lo, s0
	s_delay_alu instid0(SALU_CYCLE_1)
	s_and_b32 exec_lo, exec_lo, s2
	s_cbranch_execz .LBB3_4
.LBB3_36:
	s_mov_b32 s0, exec_lo
                                        ; implicit-def: $vgpr10_vgpr11
                                        ; implicit-def: $vgpr12_vgpr13
                                        ; implicit-def: $vgpr6_vgpr7
	v_cmpx_ngt_f64_e32 0, v[16:17]
	s_xor_b32 s0, exec_lo, s0
	s_cbranch_execz .LBB3_38
; %bb.37:
	v_cmp_eq_f64_e32 vcc_lo, 0, v[16:17]
	v_dual_mov_b32 v7, 0 :: v_dual_cndmask_b32 v13, v1, v3, vcc_lo
	v_cndmask_b32_e64 v6, 8, 16, vcc_lo
	s_delay_alu instid0(VALU_DEP_2)
	v_dual_mov_b32 v11, v7 :: v_dual_cndmask_b32 v12, v0, v2
	v_cndmask_b32_e64 v10, 32, 24, vcc_lo
	v_dual_cndmask_b32 v9, v9, v15 :: v_dual_cndmask_b32 v8, v8, v14
                                        ; implicit-def: $vgpr0_vgpr1
                                        ; implicit-def: $vgpr14_vgpr15
.LBB3_38:
	s_and_not1_saveexec_b32 s0, s0
	s_cbranch_execz .LBB3_40
; %bb.39:
	v_mov_b64_e32 v[10:11], 32
	v_mov_b64_e32 v[6:7], 24
	;; [unrolled: 1-line block ×3, first 2 shown]
	flat_store_b128 v[4:5], v[0:3] offset:8
.LBB3_40:
	s_wait_xcnt 0x0
	s_or_b32 exec_lo, exec_lo, s0
	v_add_nc_u64_e32 v[0:1], v[4:5], v[6:7]
	v_add_nc_u64_e32 v[2:3], v[4:5], v[10:11]
	s_clause 0x2
	flat_store_b64 v[0:1], v[12:13]
	flat_store_b64 v[2:3], v[8:9]
	;; [unrolled: 1-line block ×3, first 2 shown]
	s_endpgm
	.section	.rodata,"a",@progbits
	.p2align	6, 0x0
	.amdhsa_kernel _ZL20rocblas_rotmg_kernelILi32EPKPdPKPKdEvT0_llS7_llS7_llT1_llS7_lli
		.amdhsa_group_segment_fixed_size 0
		.amdhsa_private_segment_fixed_size 0
		.amdhsa_kernarg_size 124
		.amdhsa_user_sgpr_count 2
		.amdhsa_user_sgpr_dispatch_ptr 0
		.amdhsa_user_sgpr_queue_ptr 0
		.amdhsa_user_sgpr_kernarg_segment_ptr 1
		.amdhsa_user_sgpr_dispatch_id 0
		.amdhsa_user_sgpr_kernarg_preload_length 0
		.amdhsa_user_sgpr_kernarg_preload_offset 0
		.amdhsa_user_sgpr_private_segment_size 0
		.amdhsa_wavefront_size32 1
		.amdhsa_uses_dynamic_stack 0
		.amdhsa_enable_private_segment 0
		.amdhsa_system_sgpr_workgroup_id_x 1
		.amdhsa_system_sgpr_workgroup_id_y 0
		.amdhsa_system_sgpr_workgroup_id_z 0
		.amdhsa_system_sgpr_workgroup_info 0
		.amdhsa_system_vgpr_workitem_id 0
		.amdhsa_next_free_vgpr 38
		.amdhsa_next_free_sgpr 20
		.amdhsa_named_barrier_count 0
		.amdhsa_reserve_vcc 1
		.amdhsa_float_round_mode_32 0
		.amdhsa_float_round_mode_16_64 0
		.amdhsa_float_denorm_mode_32 3
		.amdhsa_float_denorm_mode_16_64 3
		.amdhsa_fp16_overflow 0
		.amdhsa_memory_ordered 1
		.amdhsa_forward_progress 1
		.amdhsa_inst_pref_size 23
		.amdhsa_round_robin_scheduling 0
		.amdhsa_exception_fp_ieee_invalid_op 0
		.amdhsa_exception_fp_denorm_src 0
		.amdhsa_exception_fp_ieee_div_zero 0
		.amdhsa_exception_fp_ieee_overflow 0
		.amdhsa_exception_fp_ieee_underflow 0
		.amdhsa_exception_fp_ieee_inexact 0
		.amdhsa_exception_int_div_zero 0
	.end_amdhsa_kernel
	.section	.text._ZL20rocblas_rotmg_kernelILi32EPKPdPKPKdEvT0_llS7_llS7_llT1_llS7_lli,"axG",@progbits,_ZL20rocblas_rotmg_kernelILi32EPKPdPKPKdEvT0_llS7_llS7_llT1_llS7_lli,comdat
.Lfunc_end3:
	.size	_ZL20rocblas_rotmg_kernelILi32EPKPdPKPKdEvT0_llS7_llS7_llT1_llS7_lli, .Lfunc_end3-_ZL20rocblas_rotmg_kernelILi32EPKPdPKPKdEvT0_llS7_llS7_llT1_llS7_lli
                                        ; -- End function
	.set _ZL20rocblas_rotmg_kernelILi32EPKPdPKPKdEvT0_llS7_llS7_llT1_llS7_lli.num_vgpr, 38
	.set _ZL20rocblas_rotmg_kernelILi32EPKPdPKPKdEvT0_llS7_llS7_llT1_llS7_lli.num_agpr, 0
	.set _ZL20rocblas_rotmg_kernelILi32EPKPdPKPKdEvT0_llS7_llS7_llT1_llS7_lli.numbered_sgpr, 20
	.set _ZL20rocblas_rotmg_kernelILi32EPKPdPKPKdEvT0_llS7_llS7_llT1_llS7_lli.num_named_barrier, 0
	.set _ZL20rocblas_rotmg_kernelILi32EPKPdPKPKdEvT0_llS7_llS7_llT1_llS7_lli.private_seg_size, 0
	.set _ZL20rocblas_rotmg_kernelILi32EPKPdPKPKdEvT0_llS7_llS7_llT1_llS7_lli.uses_vcc, 1
	.set _ZL20rocblas_rotmg_kernelILi32EPKPdPKPKdEvT0_llS7_llS7_llT1_llS7_lli.uses_flat_scratch, 1
	.set _ZL20rocblas_rotmg_kernelILi32EPKPdPKPKdEvT0_llS7_llS7_llT1_llS7_lli.has_dyn_sized_stack, 0
	.set _ZL20rocblas_rotmg_kernelILi32EPKPdPKPKdEvT0_llS7_llS7_llT1_llS7_lli.has_recursion, 0
	.set _ZL20rocblas_rotmg_kernelILi32EPKPdPKPKdEvT0_llS7_llS7_llT1_llS7_lli.has_indirect_call, 0
	.section	.AMDGPU.csdata,"",@progbits
; Kernel info:
; codeLenInByte = 2868
; TotalNumSgprs: 22
; NumVgprs: 38
; ScratchSize: 0
; MemoryBound: 0
; FloatMode: 240
; IeeeMode: 1
; LDSByteSize: 0 bytes/workgroup (compile time only)
; SGPRBlocks: 0
; VGPRBlocks: 2
; NumSGPRsForWavesPerEU: 22
; NumVGPRsForWavesPerEU: 38
; NamedBarCnt: 0
; Occupancy: 16
; WaveLimiterHint : 1
; COMPUTE_PGM_RSRC2:SCRATCH_EN: 0
; COMPUTE_PGM_RSRC2:USER_SGPR: 2
; COMPUTE_PGM_RSRC2:TRAP_HANDLER: 0
; COMPUTE_PGM_RSRC2:TGID_X_EN: 1
; COMPUTE_PGM_RSRC2:TGID_Y_EN: 0
; COMPUTE_PGM_RSRC2:TGID_Z_EN: 0
; COMPUTE_PGM_RSRC2:TIDIG_COMP_CNT: 0
	.section	.AMDGPU.gpr_maximums,"",@progbits
	.set amdgpu.max_num_vgpr, 0
	.set amdgpu.max_num_agpr, 0
	.set amdgpu.max_num_sgpr, 0
	.section	.AMDGPU.csdata,"",@progbits
	.type	__hip_cuid_6a4183f5dfa59e28,@object ; @__hip_cuid_6a4183f5dfa59e28
	.section	.bss,"aw",@nobits
	.globl	__hip_cuid_6a4183f5dfa59e28
__hip_cuid_6a4183f5dfa59e28:
	.byte	0                               ; 0x0
	.size	__hip_cuid_6a4183f5dfa59e28, 1

	.ident	"AMD clang version 22.0.0git (https://github.com/RadeonOpenCompute/llvm-project roc-7.2.4 26084 f58b06dce1f9c15707c5f808fd002e18c2accf7e)"
	.section	".note.GNU-stack","",@progbits
	.addrsig
	.addrsig_sym __hip_cuid_6a4183f5dfa59e28
	.amdgpu_metadata
---
amdhsa.kernels:
  - .args:
      - .address_space:  global
        .offset:         0
        .size:           8
        .value_kind:     global_buffer
      - .offset:         8
        .size:           8
        .value_kind:     by_value
      - .offset:         16
        .size:           8
        .value_kind:     by_value
      - .address_space:  global
        .offset:         24
        .size:           8
        .value_kind:     global_buffer
      - .offset:         32
        .size:           8
        .value_kind:     by_value
      - .offset:         40
        .size:           8
        .value_kind:     by_value
      - .address_space:  global
        .offset:         48
        .size:           8
        .value_kind:     global_buffer
      - .offset:         56
        .size:           8
        .value_kind:     by_value
      - .offset:         64
        .size:           8
        .value_kind:     by_value
      - .address_space:  global
        .offset:         72
        .size:           8
        .value_kind:     global_buffer
      - .offset:         80
        .size:           8
        .value_kind:     by_value
      - .offset:         88
        .size:           8
        .value_kind:     by_value
      - .address_space:  global
        .offset:         96
        .size:           8
        .value_kind:     global_buffer
      - .offset:         104
        .size:           8
        .value_kind:     by_value
      - .offset:         112
        .size:           8
        .value_kind:     by_value
      - .offset:         120
        .size:           4
        .value_kind:     by_value
    .group_segment_fixed_size: 0
    .kernarg_segment_align: 8
    .kernarg_segment_size: 124
    .language:       OpenCL C
    .language_version:
      - 2
      - 0
    .max_flat_workgroup_size: 32
    .name:           _ZL20rocblas_rotmg_kernelILi32EPfPKfEvT0_llS3_llS3_llT1_llS3_lli
    .private_segment_fixed_size: 0
    .sgpr_count:     46
    .sgpr_spill_count: 0
    .symbol:         _ZL20rocblas_rotmg_kernelILi32EPfPKfEvT0_llS3_llS3_llT1_llS3_lli.kd
    .uniform_work_group_size: 1
    .uses_dynamic_stack: false
    .vgpr_count:     26
    .vgpr_spill_count: 0
    .wavefront_size: 32
  - .args:
      - .address_space:  global
        .offset:         0
        .size:           8
        .value_kind:     global_buffer
      - .offset:         8
        .size:           8
        .value_kind:     by_value
      - .offset:         16
        .size:           8
        .value_kind:     by_value
      - .address_space:  global
        .offset:         24
        .size:           8
        .value_kind:     global_buffer
      - .offset:         32
        .size:           8
        .value_kind:     by_value
      - .offset:         40
        .size:           8
        .value_kind:     by_value
      - .address_space:  global
        .offset:         48
        .size:           8
        .value_kind:     global_buffer
      - .offset:         56
        .size:           8
        .value_kind:     by_value
      - .offset:         64
        .size:           8
        .value_kind:     by_value
      - .address_space:  global
        .offset:         72
        .size:           8
        .value_kind:     global_buffer
      - .offset:         80
        .size:           8
        .value_kind:     by_value
      - .offset:         88
        .size:           8
        .value_kind:     by_value
      - .address_space:  global
        .offset:         96
        .size:           8
        .value_kind:     global_buffer
      - .offset:         104
        .size:           8
        .value_kind:     by_value
      - .offset:         112
        .size:           8
        .value_kind:     by_value
      - .offset:         120
        .size:           4
        .value_kind:     by_value
    .group_segment_fixed_size: 0
    .kernarg_segment_align: 8
    .kernarg_segment_size: 124
    .language:       OpenCL C
    .language_version:
      - 2
      - 0
    .max_flat_workgroup_size: 32
    .name:           _ZL20rocblas_rotmg_kernelILi32EPdPKdEvT0_llS3_llS3_llT1_llS3_lli
    .private_segment_fixed_size: 0
    .sgpr_count:     46
    .sgpr_spill_count: 0
    .symbol:         _ZL20rocblas_rotmg_kernelILi32EPdPKdEvT0_llS3_llS3_llT1_llS3_lli.kd
    .uniform_work_group_size: 1
    .uses_dynamic_stack: false
    .vgpr_count:     38
    .vgpr_spill_count: 0
    .wavefront_size: 32
  - .args:
      - .address_space:  global
        .offset:         0
        .size:           8
        .value_kind:     global_buffer
      - .offset:         8
        .size:           8
        .value_kind:     by_value
      - .offset:         16
        .size:           8
        .value_kind:     by_value
      - .address_space:  global
        .offset:         24
        .size:           8
        .value_kind:     global_buffer
      - .offset:         32
        .size:           8
        .value_kind:     by_value
      - .offset:         40
        .size:           8
        .value_kind:     by_value
      - .address_space:  global
        .offset:         48
        .size:           8
        .value_kind:     global_buffer
      - .offset:         56
        .size:           8
        .value_kind:     by_value
      - .offset:         64
        .size:           8
        .value_kind:     by_value
      - .address_space:  global
        .offset:         72
        .size:           8
        .value_kind:     global_buffer
      - .offset:         80
        .size:           8
        .value_kind:     by_value
      - .offset:         88
        .size:           8
        .value_kind:     by_value
      - .address_space:  global
        .offset:         96
        .size:           8
        .value_kind:     global_buffer
      - .offset:         104
        .size:           8
        .value_kind:     by_value
      - .offset:         112
        .size:           8
        .value_kind:     by_value
      - .offset:         120
        .size:           4
        .value_kind:     by_value
    .group_segment_fixed_size: 0
    .kernarg_segment_align: 8
    .kernarg_segment_size: 124
    .language:       OpenCL C
    .language_version:
      - 2
      - 0
    .max_flat_workgroup_size: 32
    .name:           _ZL20rocblas_rotmg_kernelILi32EPKPfPKPKfEvT0_llS7_llS7_llT1_llS7_lli
    .private_segment_fixed_size: 0
    .sgpr_count:     22
    .sgpr_spill_count: 0
    .symbol:         _ZL20rocblas_rotmg_kernelILi32EPKPfPKPKfEvT0_llS7_llS7_llT1_llS7_lli.kd
    .uniform_work_group_size: 1
    .uses_dynamic_stack: false
    .vgpr_count:     26
    .vgpr_spill_count: 0
    .wavefront_size: 32
  - .args:
      - .address_space:  global
        .offset:         0
        .size:           8
        .value_kind:     global_buffer
      - .offset:         8
        .size:           8
        .value_kind:     by_value
      - .offset:         16
        .size:           8
        .value_kind:     by_value
      - .address_space:  global
        .offset:         24
        .size:           8
        .value_kind:     global_buffer
      - .offset:         32
        .size:           8
        .value_kind:     by_value
      - .offset:         40
        .size:           8
        .value_kind:     by_value
      - .address_space:  global
        .offset:         48
        .size:           8
        .value_kind:     global_buffer
      - .offset:         56
        .size:           8
        .value_kind:     by_value
      - .offset:         64
        .size:           8
        .value_kind:     by_value
      - .address_space:  global
        .offset:         72
        .size:           8
        .value_kind:     global_buffer
      - .offset:         80
        .size:           8
        .value_kind:     by_value
      - .offset:         88
        .size:           8
        .value_kind:     by_value
      - .address_space:  global
        .offset:         96
        .size:           8
        .value_kind:     global_buffer
      - .offset:         104
        .size:           8
        .value_kind:     by_value
      - .offset:         112
        .size:           8
        .value_kind:     by_value
      - .offset:         120
        .size:           4
        .value_kind:     by_value
    .group_segment_fixed_size: 0
    .kernarg_segment_align: 8
    .kernarg_segment_size: 124
    .language:       OpenCL C
    .language_version:
      - 2
      - 0
    .max_flat_workgroup_size: 32
    .name:           _ZL20rocblas_rotmg_kernelILi32EPKPdPKPKdEvT0_llS7_llS7_llT1_llS7_lli
    .private_segment_fixed_size: 0
    .sgpr_count:     22
    .sgpr_spill_count: 0
    .symbol:         _ZL20rocblas_rotmg_kernelILi32EPKPdPKPKdEvT0_llS7_llS7_llT1_llS7_lli.kd
    .uniform_work_group_size: 1
    .uses_dynamic_stack: false
    .vgpr_count:     38
    .vgpr_spill_count: 0
    .wavefront_size: 32
amdhsa.target:   amdgcn-amd-amdhsa--gfx1250
amdhsa.version:
  - 1
  - 2
...

	.end_amdgpu_metadata
